;; amdgpu-corpus repo=ROCm/rocFFT kind=compiled arch=gfx950 opt=O3
	.text
	.amdgcn_target "amdgcn-amd-amdhsa--gfx950"
	.amdhsa_code_object_version 6
	.protected	bluestein_single_back_len1445_dim1_dp_op_CI_CI ; -- Begin function bluestein_single_back_len1445_dim1_dp_op_CI_CI
	.globl	bluestein_single_back_len1445_dim1_dp_op_CI_CI
	.p2align	8
	.type	bluestein_single_back_len1445_dim1_dp_op_CI_CI,@function
bluestein_single_back_len1445_dim1_dp_op_CI_CI: ; @bluestein_single_back_len1445_dim1_dp_op_CI_CI
; %bb.0:
	s_load_dwordx4 s[12:15], s[0:1], 0x28
	v_mul_u32_u24_e32 v1, 0x304, v0
	v_add_u32_sdwa v8, s2, v1 dst_sel:DWORD dst_unused:UNUSED_PAD src0_sel:DWORD src1_sel:WORD_1
	v_mov_b32_e32 v9, 0
	s_waitcnt lgkmcnt(0)
	v_cmp_gt_u64_e32 vcc, s[12:13], v[8:9]
	s_and_saveexec_b64 s[2:3], vcc
	s_cbranch_execz .LBB0_10
; %bb.1:
	s_load_dwordx4 s[4:7], s[0:1], 0x18
	s_load_dwordx4 s[8:11], s[0:1], 0x0
	v_mov_b32_e32 v2, s14
	v_mov_b32_e32 v3, s15
	s_movk_i32 s2, 0x55
	s_waitcnt lgkmcnt(0)
	s_load_dwordx4 s[12:15], s[4:5], 0x0
	v_mul_lo_u16_sdwa v1, v1, s2 dst_sel:DWORD dst_unused:UNUSED_PAD src0_sel:WORD_1 src1_sel:DWORD
	v_sub_u16_e32 v60, v0, v1
	v_lshlrev_b32_e32 v20, 4, v60
	v_mov_b32_e32 v21, v9
	s_waitcnt lgkmcnt(0)
	v_mad_u64_u32 v[0:1], s[2:3], s14, v8, 0
	v_mov_b32_e32 v4, v1
	v_mad_u64_u32 v[4:5], s[2:3], s15, v8, v[4:5]
	v_mov_b32_e32 v1, v4
	v_mad_u64_u32 v[4:5], s[2:3], s12, v60, 0
	v_mov_b32_e32 v6, v5
	v_mad_u64_u32 v[6:7], s[2:3], s13, v60, v[6:7]
	v_mov_b32_e32 v5, v6
	v_lshl_add_u64 v[0:1], v[0:1], 4, v[2:3]
	s_movk_i32 s2, 0x1000
	v_lshl_add_u64 v[26:27], s[8:9], 0, v[20:21]
	v_lshl_add_u64 v[0:1], v[4:5], 4, v[0:1]
	v_add_co_u32_e32 v4, vcc, s2, v26
	s_movk_i32 s3, 0x2000
	s_nop 0
	v_addc_co_u32_e32 v5, vcc, 0, v27, vcc
	v_add_co_u32_e32 v6, vcc, s3, v26
	v_mov_b32_e32 v2, 0x550
	s_movk_i32 s4, 0x3000
	v_addc_co_u32_e32 v7, vcc, 0, v27, vcc
	global_load_dwordx4 v[68:71], v[0:1], off
	v_add_co_u32_e32 v28, vcc, s4, v26
	s_mul_i32 s2, s13, 0x550
	v_mad_u64_u32 v[0:1], s[4:5], s12, v2, v[0:1]
	v_add_u32_e32 v1, s2, v1
	global_load_dwordx4 v[36:39], v20, s[8:9]
	v_mad_u64_u32 v[12:13], s[4:5], s12, v2, v[0:1]
	v_add_u32_e32 v13, s2, v13
	v_accvgpr_write_b32 a2, v8
	global_load_dwordx4 v[148:151], v20, s[8:9] offset:1360
	global_load_dwordx4 v[144:147], v20, s[8:9] offset:2720
	;; [unrolled: 1-line block ×3, first 2 shown]
	global_load_dwordx4 v[136:139], v[4:5], off offset:1344
	global_load_dwordx4 v[132:135], v[4:5], off offset:2704
	;; [unrolled: 1-line block ×6, first 2 shown]
	s_nop 0
	global_load_dwordx4 v[4:7], v[0:1], off
	global_load_dwordx4 v[8:11], v[12:13], off
	v_mad_u64_u32 v[0:1], s[4:5], s12, v2, v[12:13]
	v_add_u32_e32 v1, s2, v1
	v_mad_u64_u32 v[22:23], s[4:5], s12, v2, v[0:1]
	v_add_u32_e32 v23, s2, v23
	global_load_dwordx4 v[12:15], v[0:1], off
	global_load_dwordx4 v[16:19], v[22:23], off
	v_mad_u64_u32 v[0:1], s[4:5], s12, v2, v[22:23]
	v_add_u32_e32 v1, s2, v1
	global_load_dwordx4 v[22:25], v[0:1], off
	v_mad_u64_u32 v[0:1], s[4:5], s12, v2, v[0:1]
	v_add_u32_e32 v1, s2, v1
	;; [unrolled: 3-line block ×6, first 2 shown]
	v_mad_u64_u32 v[30:31], s[4:5], s12, v2, v[0:1]
	v_add_u32_e32 v31, s2, v31
	v_addc_co_u32_e32 v29, vcc, 0, v27, vcc
	global_load_dwordx4 v[88:91], v[0:1], off
	global_load_dwordx4 v[92:95], v[30:31], off
	global_load_dwordx4 v[62:65], v[28:29], off offset:1312
	global_load_dwordx4 v[44:47], v[28:29], off offset:2672
	v_mad_u64_u32 v[30:31], s[4:5], s12, v2, v[30:31]
	v_add_u32_e32 v31, s2, v31
	global_load_dwordx4 v[96:99], v[30:31], off
	v_mad_u64_u32 v[30:31], s[4:5], s12, v2, v[30:31]
	s_movk_i32 s3, 0x4000
	v_add_u32_e32 v31, s2, v31
	v_add_co_u32_e32 v34, vcc, s3, v26
	global_load_dwordx4 v[100:103], v[30:31], off
	s_nop 0
	v_addc_co_u32_e32 v35, vcc, 0, v27, vcc
	global_load_dwordx4 v[116:119], v[28:29], off offset:4032
	global_load_dwordx4 v[48:51], v[34:35], off offset:1296
	v_mad_u64_u32 v[28:29], s[4:5], s12, v2, v[30:31]
	v_add_u32_e32 v29, s2, v29
	global_load_dwordx4 v[104:107], v[28:29], off
	v_mad_u64_u32 v[28:29], s[4:5], s12, v2, v[28:29]
	v_add_u32_e32 v29, s2, v29
	v_mad_u64_u32 v[2:3], s[4:5], s12, v2, v[28:29]
	global_load_dwordx4 v[108:111], v[28:29], off
	global_load_dwordx4 v[120:123], v[34:35], off offset:2656
	global_load_dwordx4 v[52:55], v[34:35], off offset:4016
	v_add_u32_e32 v3, s2, v3
	s_movk_i32 s2, 0x5000
	global_load_dwordx4 v[112:115], v[2:3], off
	v_add_co_u32_e32 v2, vcc, s2, v26
	s_load_dwordx4 s[4:7], s[6:7], 0x0
	s_nop 0
	v_addc_co_u32_e32 v3, vcc, 0, v27, vcc
	global_load_dwordx4 v[26:29], v[2:3], off offset:1280
	s_mov_b32 s36, 0xeb564b22
	s_mov_b32 s34, 0x5d8e7cdc
	s_waitcnt vmcnt(32)
	v_mul_f64 v[0:1], v[70:71], v[38:39]
	v_mul_f64 v[32:33], v[68:69], v[38:39]
	v_fmac_f64_e32 v[0:1], v[68:69], v[36:37]
	v_fma_f64 v[2:3], v[70:71], v[36:37], -v[32:33]
	ds_write_b128 v20, v[0:3]
	s_waitcnt vmcnt(25)
	v_accvgpr_write_b32 a44, v124
	s_waitcnt vmcnt(22)
	v_mul_f64 v[0:1], v[6:7], v[150:151]
	v_mul_f64 v[2:3], v[4:5], v[150:151]
	v_fmac_f64_e32 v[0:1], v[4:5], v[148:149]
	v_fma_f64 v[2:3], v[6:7], v[148:149], -v[2:3]
	ds_write_b128 v20, v[0:3] offset:1360
	s_waitcnt vmcnt(21)
	v_mul_f64 v[0:1], v[10:11], v[146:147]
	v_mul_f64 v[2:3], v[8:9], v[146:147]
	v_fmac_f64_e32 v[0:1], v[8:9], v[144:145]
	v_fma_f64 v[2:3], v[10:11], v[144:145], -v[2:3]
	ds_write_b128 v20, v[0:3] offset:2720
	;; [unrolled: 6-line block ×15, first 2 shown]
	s_waitcnt vmcnt(0)
	v_mul_f64 v[0:1], v[114:115], v[28:29]
	v_mul_f64 v[2:3], v[112:113], v[28:29]
	v_accvgpr_write_b32 a40, v120
	v_fmac_f64_e32 v[0:1], v[112:113], v[26:27]
	v_fma_f64 v[2:3], v[114:115], v[26:27], -v[2:3]
	v_accvgpr_write_b32 a41, v121
	v_accvgpr_write_b32 a42, v122
	;; [unrolled: 1-line block ×3, first 2 shown]
	ds_write_b128 v20, v[0:3] offset:21760
	s_waitcnt lgkmcnt(0)
	s_barrier
	ds_read_b128 v[72:75], v20
	ds_read_b128 v[0:3], v20 offset:1360
	ds_read_b128 v[120:123], v20 offset:2720
	;; [unrolled: 1-line block ×9, first 2 shown]
	s_waitcnt lgkmcnt(8)
	v_add_f64 v[6:7], v[74:75], v[2:3]
	s_waitcnt lgkmcnt(7)
	v_add_f64 v[6:7], v[6:7], v[122:123]
	v_add_f64 v[4:5], v[72:73], v[0:1]
	s_waitcnt lgkmcnt(6)
	v_add_f64 v[6:7], v[6:7], v[114:115]
	;; [unrolled: 3-line block ×4, first 2 shown]
	ds_read_b128 v[92:95], v20 offset:13600
	ds_read_b128 v[100:103], v20 offset:14960
	v_add_f64 v[4:5], v[4:5], v[104:105]
	s_waitcnt lgkmcnt(5)
	v_add_f64 v[6:7], v[6:7], v[90:91]
	v_accvgpr_write_b32 a36, v116
	v_add_f64 v[4:5], v[4:5], v[96:97]
	s_waitcnt lgkmcnt(4)
	v_add_f64 v[6:7], v[6:7], v[86:87]
	ds_read_b128 v[108:111], v20 offset:16320
	v_accvgpr_write_b32 a37, v117
	v_accvgpr_write_b32 a38, v118
	;; [unrolled: 1-line block ×3, first 2 shown]
	ds_read_b128 v[116:119], v20 offset:17680
	v_add_f64 v[4:5], v[4:5], v[88:89]
	s_waitcnt lgkmcnt(5)
	v_add_f64 v[6:7], v[6:7], v[78:79]
	v_add_f64 v[4:5], v[4:5], v[84:85]
	s_waitcnt lgkmcnt(4)
	v_add_f64 v[6:7], v[6:7], v[82:83]
	;; [unrolled: 3-line block ×6, first 2 shown]
	ds_read_b128 v[8:11], v20 offset:21760
	v_accvgpr_write_b32 a45, v125
	v_accvgpr_write_b32 a46, v126
	;; [unrolled: 1-line block ×3, first 2 shown]
	v_add_f64 v[4:5], v[4:5], v[108:109]
	ds_read_b128 v[124:127], v20 offset:19040
	v_add_f64 v[12:13], v[4:5], v[116:117]
	ds_read_b128 v[4:7], v20 offset:20400
	v_accvgpr_write_b32 a52, v132
	v_accvgpr_write_b32 a53, v133
	;; [unrolled: 1-line block ×4, first 2 shown]
	s_waitcnt lgkmcnt(2)
	v_add_f64 v[134:135], v[2:3], -v[10:11]
	s_mov_b32 s37, 0xbfefdd0d
	s_mov_b32 s2, 0x3259b75e
	;; [unrolled: 1-line block ×3, first 2 shown]
	v_accvgpr_write_b32 a4, v36
	v_accvgpr_write_b32 a48, v128
	s_waitcnt lgkmcnt(1)
	v_add_f64 v[14:15], v[14:15], v[126:127]
	v_add_f64 v[132:133], v[0:1], v[8:9]
	s_mov_b32 s35, 0xbfd71e95
	s_mov_b32 s16, 0x370991
	;; [unrolled: 1-line block ×4, first 2 shown]
	v_mul_f64 v[34:35], v[134:135], s[36:37]
	s_mov_b32 s25, 0xbfeec746
	s_mov_b32 s18, 0xc61f0d01
	;; [unrolled: 1-line block ×3, first 2 shown]
	v_accvgpr_write_b32 a5, v37
	v_accvgpr_write_b32 a6, v38
	;; [unrolled: 1-line block ×7, first 2 shown]
	v_add_f64 v[12:13], v[12:13], v[124:125]
	s_waitcnt lgkmcnt(0)
	v_add_f64 v[14:15], v[14:15], v[6:7]
	v_add_f64 v[130:131], v[0:1], -v[8:9]
	v_add_f64 v[0:1], v[122:123], v[6:7]
	v_add_f64 v[6:7], v[122:123], -v[6:7]
	s_mov_b32 s17, 0x3fedd6d0
	v_mul_f64 v[22:23], v[134:135], s[34:35]
	s_mov_b32 s41, 0xbfe58eea
	s_mov_b32 s14, 0x75d4884
	;; [unrolled: 1-line block ×3, first 2 shown]
	v_fma_f64 v[36:37], v[132:133], s[2:3], -v[34:35]
	v_fmac_f64_e32 v[34:35], s[2:3], v[132:133]
	s_mov_b32 s19, 0xbfd183b1
	v_mul_f64 v[38:39], v[134:135], s[24:25]
	s_mov_b32 s27, 0xbfe9895b
	s_mov_b32 s20, 0x6ed5f1bb
	v_accvgpr_write_b32 a56, v136
	v_accvgpr_write_b32 a9, v41
	;; [unrolled: 1-line block ×6, first 2 shown]
	v_add_f64 v[12:13], v[12:13], v[4:5]
	v_add_f64 v[70:71], v[14:15], v[10:11]
	;; [unrolled: 1-line block ×4, first 2 shown]
	v_add_f64 v[14:15], v[114:115], -v[126:127]
	v_add_f64 v[18:19], v[104:105], v[116:117]
	v_add_f64 v[104:105], v[104:105], -v[116:117]
	v_add_f64 v[116:117], v[90:91], v[102:103]
	v_add_f64 v[122:123], v[90:91], -v[102:103]
	v_fma_f64 v[24:25], v[132:133], s[16:17], -v[22:23]
	s_mov_b32 s15, 0x3fe7a5f6
	s_mov_b32 s47, 0xbfeca52d
	;; [unrolled: 1-line block ×3, first 2 shown]
	v_fma_f64 v[40:41], v[132:133], s[18:19], -v[38:39]
	s_mov_b32 s21, 0xbfe348c8
	v_mul_f64 v[42:43], v[134:135], s[26:27]
	v_add_f64 v[90:91], v[72:73], v[34:35]
	v_mul_f64 v[34:35], v[6:7], s[40:41]
	v_accvgpr_write_b32 a57, v137
	v_accvgpr_write_b32 a58, v138
	;; [unrolled: 1-line block ×10, first 2 shown]
	v_add_f64 v[68:69], v[12:13], v[8:9]
	v_add_f64 v[4:5], v[120:121], -v[4:5]
	v_add_f64 v[10:11], v[112:113], v[124:125]
	v_add_f64 v[12:13], v[112:113], -v[124:125]
	;; [unrolled: 2-line block ×3, first 2 shown]
	s_mov_b32 s13, 0x3fdc86fa
	v_fma_f64 v[44:45], v[132:133], s[20:21], -v[42:43]
	v_fmac_f64_e32 v[42:43], s[20:21], v[132:133]
	v_mul_f64 v[54:55], v[130:131], s[34:35]
	v_add_f64 v[24:25], v[72:73], v[24:25]
	v_add_f64 v[94:95], v[72:73], v[36:37]
	;; [unrolled: 1-line block ×3, first 2 shown]
	v_fma_f64 v[36:37], v[2:3], s[14:15], -v[34:35]
	v_mul_f64 v[40:41], v[14:15], s[46:47]
	v_accvgpr_write_b32 a25, v57
	v_accvgpr_write_b32 a26, v58
	;; [unrolled: 1-line block ×3, first 2 shown]
	v_fmac_f64_e32 v[38:39], s[18:19], v[132:133]
	s_mov_b32 s28, 0x4363dd80
	v_fma_f64 v[56:57], s[16:17], v[128:129], v[54:55]
	v_add_f64 v[166:167], v[72:73], v[42:43]
	v_add_f64 v[24:25], v[36:37], v[24:25]
	v_mul_f64 v[36:37], v[4:5], s[40:41]
	v_fma_f64 v[42:43], v[10:11], s[12:13], -v[40:41]
	v_add_f64 v[8:9], v[114:115], v[126:127]
	v_add_f64 v[112:113], v[98:99], v[110:111]
	v_add_f64 v[110:111], v[98:99], -v[110:111]
	s_mov_b32 s29, 0xbfe0d888
	s_mov_b32 s22, 0x910ea3b9
	v_add_f64 v[56:57], v[74:75], v[56:57]
	v_add_f64 v[98:99], v[72:73], v[38:39]
	v_fma_f64 v[38:39], s[14:15], v[0:1], v[36:37]
	v_add_f64 v[24:25], v[42:43], v[24:25]
	v_mul_f64 v[42:43], v[12:13], s[46:47]
	v_accvgpr_write_b32 a16, v48
	v_add_f64 v[16:17], v[106:107], v[118:119]
	v_add_f64 v[106:107], v[106:107], -v[118:119]
	s_mov_b32 s23, 0xbfeb34fa
	v_mul_f64 v[46:47], v[134:135], s[28:29]
	s_mov_b32 s38, 0xacd6c6b4
	v_add_f64 v[170:171], v[72:73], v[44:45]
	v_add_f64 v[38:39], v[38:39], v[56:57]
	v_fma_f64 v[44:45], s[12:13], v[8:9], v[42:43]
	v_accvgpr_write_b32 a17, v49
	v_accvgpr_write_b32 a18, v50
	;; [unrolled: 1-line block ×4, first 2 shown]
	v_fma_f64 v[48:49], v[132:133], s[22:23], -v[46:47]
	v_fmac_f64_e32 v[46:47], s[22:23], v[132:133]
	s_mov_b32 s39, 0xbfc7851a
	s_mov_b32 s30, 0x7faef3
	v_add_f64 v[38:39], v[44:45], v[38:39]
	v_mul_f64 v[44:45], v[106:107], s[36:37]
	v_accvgpr_write_b32 a30, v28
	v_accvgpr_write_b32 a29, v27
	;; [unrolled: 1-line block ×3, first 2 shown]
	v_add_f64 v[118:119], v[88:89], v[100:101]
	v_add_f64 v[120:121], v[88:89], -v[100:101]
	v_mul_f64 v[26:27], v[134:135], s[40:41]
	v_mul_f64 v[30:31], v[134:135], s[46:47]
	;; [unrolled: 1-line block ×3, first 2 shown]
	s_mov_b32 s31, 0xbfef7484
	v_mul_f64 v[88:89], v[130:131], s[26:27]
	v_add_f64 v[158:159], v[72:73], v[46:47]
	v_fma_f64 v[46:47], v[18:19], s[2:3], -v[44:45]
	v_accvgpr_write_b32 a64, v144
	v_fmac_f64_e32 v[22:23], s[16:17], v[132:133]
	v_fma_f64 v[28:29], v[132:133], s[14:15], -v[26:27]
	v_fmac_f64_e32 v[26:27], s[14:15], v[132:133]
	v_fma_f64 v[32:33], v[132:133], s[12:13], -v[30:31]
	;; [unrolled: 2-line block ×3, first 2 shown]
	v_fmac_f64_e32 v[50:51], s[30:31], v[132:133]
	v_fma_f64 v[132:133], s[20:21], v[128:129], v[88:89]
	v_fma_f64 v[134:135], v[128:129], s[20:21], -v[88:89]
	v_mul_f64 v[88:89], v[130:131], s[28:29]
	v_add_f64 v[24:25], v[46:47], v[24:25]
	v_mul_f64 v[46:47], v[104:105], s[36:37]
	v_accvgpr_write_b32 a68, v148
	v_accvgpr_write_b32 a65, v145
	;; [unrolled: 1-line block ×5, first 2 shown]
	v_fma_f64 v[144:145], s[22:23], v[128:129], v[88:89]
	v_fma_f64 v[146:147], v[128:129], s[22:23], -v[88:89]
	v_mul_f64 v[88:89], v[130:131], s[38:39]
	v_add_f64 v[162:163], v[72:73], v[48:49]
	v_fma_f64 v[48:49], s[2:3], v[16:17], v[46:47]
	v_accvgpr_write_b32 a69, v149
	v_accvgpr_write_b32 a70, v150
	;; [unrolled: 1-line block ×6, first 2 shown]
	v_add_f64 v[114:115], v[96:97], v[108:109]
	v_add_f64 v[140:141], v[78:79], v[82:83]
	v_add_f64 v[150:151], v[78:79], -v[82:83]
	v_mul_f64 v[58:59], v[130:131], s[40:41]
	v_mul_f64 v[78:79], v[130:131], s[46:47]
	;; [unrolled: 1-line block ×4, first 2 shown]
	v_fma_f64 v[130:131], s[30:31], v[128:129], v[88:89]
	v_add_f64 v[38:39], v[48:49], v[38:39]
	v_mul_f64 v[48:49], v[110:111], s[24:25]
	v_add_f64 v[108:109], v[96:97], -v[108:109]
	v_add_f64 v[152:153], v[74:75], v[130:131]
	v_add_f64 v[130:131], v[72:73], v[50:51]
	v_fma_f64 v[50:51], v[114:115], s[18:19], -v[48:49]
	v_add_f64 v[24:25], v[50:51], v[24:25]
	v_mul_f64 v[50:51], v[108:109], s[24:25]
	v_add_f64 v[154:155], v[72:73], v[52:53]
	v_fma_f64 v[52:53], s[18:19], v[112:113], v[50:51]
	v_add_f64 v[38:39], v[52:53], v[38:39]
	v_mul_f64 v[52:53], v[122:123], s[26:27]
	v_fma_f64 v[54:55], v[128:129], s[16:17], -v[54:55]
	v_add_f64 v[22:23], v[72:73], v[22:23]
	v_fma_f64 v[56:57], v[118:119], s[20:21], -v[52:53]
	v_fmac_f64_e32 v[34:35], s[14:15], v[2:3]
	v_add_f64 v[142:143], v[76:77], v[80:81]
	v_add_f64 v[148:149], v[76:77], -v[80:81]
	v_fma_f64 v[80:81], s[12:13], v[128:129], v[78:79]
	v_fma_f64 v[78:79], v[128:129], s[12:13], -v[78:79]
	v_add_f64 v[54:55], v[74:75], v[54:55]
	v_add_f64 v[24:25], v[56:57], v[24:25]
	v_mul_f64 v[56:57], v[120:121], s[26:27]
	v_add_f64 v[22:23], v[34:35], v[22:23]
	v_fma_f64 v[34:35], v[0:1], s[14:15], -v[36:37]
	v_fmac_f64_e32 v[40:41], s[12:13], v[10:11]
	v_add_f64 v[126:127], v[84:85], v[92:93]
	v_add_f64 v[136:137], v[84:85], -v[92:93]
	v_fma_f64 v[84:85], s[2:3], v[128:129], v[82:83]
	v_fma_f64 v[82:83], v[128:129], s[2:3], -v[82:83]
	v_add_f64 v[28:29], v[72:73], v[28:29]
	v_add_f64 v[26:27], v[72:73], v[26:27]
	;; [unrolled: 1-line block ×5, first 2 shown]
	v_fma_f64 v[72:73], s[20:21], v[116:117], v[56:57]
	v_mul_f64 v[78:79], v[138:139], s[28:29]
	v_add_f64 v[34:35], v[34:35], v[54:55]
	v_add_f64 v[22:23], v[40:41], v[22:23]
	v_fma_f64 v[36:37], v[8:9], s[12:13], -v[42:43]
	v_fmac_f64_e32 v[44:45], s[2:3], v[18:19]
	v_fma_f64 v[76:77], s[14:15], v[128:129], v[58:59]
	v_fma_f64 v[58:59], v[128:129], s[14:15], -v[58:59]
	v_fma_f64 v[96:97], s[18:19], v[128:129], v[86:87]
	v_fma_f64 v[86:87], v[128:129], s[18:19], -v[86:87]
	v_fma_f64 v[128:129], v[128:129], s[30:31], -v[88:89]
	v_add_f64 v[88:89], v[74:75], v[82:83]
	v_add_f64 v[38:39], v[72:73], v[38:39]
	v_fma_f64 v[72:73], v[126:127], s[22:23], -v[78:79]
	v_mul_f64 v[82:83], v[136:137], s[28:29]
	v_add_f64 v[34:35], v[36:37], v[34:35]
	v_add_f64 v[22:23], v[44:45], v[22:23]
	v_fma_f64 v[36:37], v[16:17], s[2:3], -v[46:47]
	v_fmac_f64_e32 v[48:49], s[18:19], v[114:115]
	v_add_f64 v[92:93], v[74:75], v[84:85]
	v_add_f64 v[24:25], v[72:73], v[24:25]
	v_fma_f64 v[72:73], s[22:23], v[124:125], v[82:83]
	v_mul_f64 v[84:85], v[150:151], s[38:39]
	v_add_f64 v[34:35], v[36:37], v[34:35]
	v_add_f64 v[22:23], v[48:49], v[22:23]
	v_fma_f64 v[36:37], v[112:113], s[18:19], -v[50:51]
	v_fmac_f64_e32 v[52:53], s[20:21], v[118:119]
	v_add_f64 v[38:39], v[72:73], v[38:39]
	v_fma_f64 v[72:73], v[142:143], s[30:31], -v[84:85]
	v_add_f64 v[34:35], v[36:37], v[34:35]
	v_add_f64 v[22:23], v[52:53], v[22:23]
	v_fma_f64 v[36:37], v[116:117], s[20:21], -v[56:57]
	v_fmac_f64_e32 v[78:79], s[22:23], v[126:127]
	v_add_f64 v[72:73], v[72:73], v[24:25]
	v_mul_f64 v[24:25], v[148:149], s[38:39]
	v_add_f64 v[34:35], v[36:37], v[34:35]
	v_add_f64 v[22:23], v[78:79], v[22:23]
	v_fma_f64 v[36:37], v[124:125], s[22:23], -v[82:83]
	v_fmac_f64_e32 v[84:85], s[30:31], v[142:143]
	v_add_f64 v[168:169], v[74:75], v[132:133]
	v_add_f64 v[34:35], v[36:37], v[34:35]
	;; [unrolled: 1-line block ×3, first 2 shown]
	v_fma_f64 v[22:23], v[140:141], s[30:31], -v[24:25]
	v_add_f64 v[164:165], v[74:75], v[134:135]
	v_add_f64 v[134:135], v[22:23], v[34:35]
	v_mul_f64 v[22:23], v[6:7], s[36:37]
	v_add_f64 v[76:77], v[74:75], v[76:77]
	v_add_f64 v[58:59], v[74:75], v[58:59]
	;; [unrolled: 1-line block ×8, first 2 shown]
	v_fma_f64 v[74:75], s[30:31], v[140:141], v[24:25]
	v_fma_f64 v[24:25], v[2:3], s[2:3], -v[22:23]
	v_mul_f64 v[36:37], v[14:15], s[26:27]
	v_add_f64 v[74:75], v[74:75], v[38:39]
	v_add_f64 v[24:25], v[24:25], v[28:29]
	v_mul_f64 v[28:29], v[4:5], s[36:37]
	v_fma_f64 v[38:39], v[10:11], s[20:21], -v[36:37]
	v_fma_f64 v[34:35], s[2:3], v[0:1], v[28:29]
	v_add_f64 v[24:25], v[38:39], v[24:25]
	v_mul_f64 v[38:39], v[12:13], s[26:27]
	v_add_f64 v[34:35], v[34:35], v[76:77]
	v_fma_f64 v[40:41], s[20:21], v[8:9], v[38:39]
	v_add_f64 v[34:35], v[40:41], v[34:35]
	v_mul_f64 v[40:41], v[106:107], s[38:39]
	v_fma_f64 v[42:43], v[18:19], s[30:31], -v[40:41]
	v_add_f64 v[24:25], v[42:43], v[24:25]
	v_mul_f64 v[42:43], v[104:105], s[38:39]
	v_fma_f64 v[44:45], s[30:31], v[16:17], v[42:43]
	s_mov_b32 s53, 0x3fe0d888
	s_mov_b32 s52, s28
	v_add_f64 v[34:35], v[44:45], v[34:35]
	v_mul_f64 v[44:45], v[110:111], s[52:53]
	v_fma_f64 v[46:47], v[114:115], s[22:23], -v[44:45]
	v_add_f64 v[24:25], v[46:47], v[24:25]
	v_mul_f64 v[46:47], v[108:109], s[52:53]
	v_fma_f64 v[48:49], s[22:23], v[112:113], v[46:47]
	s_mov_b32 s51, 0x3feec746
	s_mov_b32 s50, s24
	;; [unrolled: 8-line block ×3, first 2 shown]
	v_add_f64 v[34:35], v[52:53], v[34:35]
	v_mul_f64 v[52:53], v[138:139], s[42:43]
	v_fmac_f64_e32 v[22:23], s[2:3], v[2:3]
	v_fma_f64 v[54:55], v[126:127], s[12:13], -v[52:53]
	v_add_f64 v[22:23], v[22:23], v[26:27]
	v_fma_f64 v[26:27], v[0:1], s[2:3], -v[28:29]
	v_fmac_f64_e32 v[36:37], s[20:21], v[10:11]
	v_add_f64 v[24:25], v[54:55], v[24:25]
	v_mul_f64 v[54:55], v[136:137], s[42:43]
	v_add_f64 v[26:27], v[26:27], v[58:59]
	v_add_f64 v[22:23], v[36:37], v[22:23]
	v_fma_f64 v[28:29], v[8:9], s[20:21], -v[38:39]
	v_fmac_f64_e32 v[40:41], s[30:31], v[18:19]
	v_fma_f64 v[56:57], s[12:13], v[124:125], v[54:55]
	s_mov_b32 s45, 0x3fd71e95
	s_mov_b32 s44, s34
	v_add_f64 v[26:27], v[28:29], v[26:27]
	v_add_f64 v[22:23], v[40:41], v[22:23]
	v_fma_f64 v[28:29], v[16:17], s[30:31], -v[42:43]
	v_fmac_f64_e32 v[44:45], s[22:23], v[114:115]
	v_add_f64 v[34:35], v[56:57], v[34:35]
	v_mul_f64 v[56:57], v[150:151], s[44:45]
	v_add_f64 v[26:27], v[28:29], v[26:27]
	v_add_f64 v[22:23], v[44:45], v[22:23]
	v_fma_f64 v[28:29], v[112:113], s[22:23], -v[46:47]
	v_fmac_f64_e32 v[48:49], s[18:19], v[118:119]
	v_fma_f64 v[76:77], v[142:143], s[16:17], -v[56:57]
	v_add_f64 v[26:27], v[28:29], v[26:27]
	v_add_f64 v[22:23], v[48:49], v[22:23]
	v_fma_f64 v[28:29], v[116:117], s[18:19], -v[50:51]
	v_fmac_f64_e32 v[52:53], s[12:13], v[126:127]
	v_add_f64 v[76:77], v[76:77], v[24:25]
	v_mul_f64 v[24:25], v[148:149], s[44:45]
	v_add_f64 v[26:27], v[28:29], v[26:27]
	v_add_f64 v[22:23], v[52:53], v[22:23]
	v_fma_f64 v[28:29], v[124:125], s[12:13], -v[54:55]
	v_fmac_f64_e32 v[56:57], s[16:17], v[142:143]
	v_add_f64 v[26:27], v[28:29], v[26:27]
	v_add_f64 v[144:145], v[56:57], v[22:23]
	v_fma_f64 v[22:23], v[140:141], s[16:17], -v[24:25]
	v_add_f64 v[146:147], v[22:23], v[26:27]
	v_mul_f64 v[22:23], v[6:7], s[26:27]
	v_fma_f64 v[78:79], s[16:17], v[140:141], v[24:25]
	v_fma_f64 v[24:25], v[2:3], s[20:21], -v[22:23]
	s_mov_b32 s49, 0x3fc7851a
	s_mov_b32 s48, s38
	v_add_f64 v[24:25], v[24:25], v[32:33]
	v_mul_f64 v[32:33], v[14:15], s[48:49]
	v_add_f64 v[78:79], v[78:79], v[34:35]
	v_mul_f64 v[26:27], v[4:5], s[26:27]
	v_fma_f64 v[34:35], v[10:11], s[30:31], -v[32:33]
	v_fma_f64 v[28:29], s[20:21], v[0:1], v[26:27]
	v_add_f64 v[24:25], v[34:35], v[24:25]
	v_mul_f64 v[34:35], v[12:13], s[48:49]
	v_add_f64 v[28:29], v[28:29], v[80:81]
	v_fma_f64 v[36:37], s[30:31], v[8:9], v[34:35]
	v_add_f64 v[28:29], v[36:37], v[28:29]
	v_mul_f64 v[36:37], v[106:107], s[50:51]
	v_fma_f64 v[38:39], v[18:19], s[18:19], -v[36:37]
	v_add_f64 v[24:25], v[38:39], v[24:25]
	v_mul_f64 v[38:39], v[104:105], s[50:51]
	v_fma_f64 v[40:41], s[18:19], v[16:17], v[38:39]
	s_mov_b32 s49, 0x3fe58eea
	s_mov_b32 s48, s40
	v_add_f64 v[28:29], v[40:41], v[28:29]
	v_mul_f64 v[40:41], v[110:111], s[48:49]
	v_fma_f64 v[42:43], v[114:115], s[14:15], -v[40:41]
	v_add_f64 v[24:25], v[42:43], v[24:25]
	v_mul_f64 v[42:43], v[108:109], s[48:49]
	v_fma_f64 v[44:45], s[14:15], v[112:113], v[42:43]
	v_add_f64 v[28:29], v[44:45], v[28:29]
	v_mul_f64 v[44:45], v[122:123], s[34:35]
	v_fma_f64 v[46:47], v[118:119], s[16:17], -v[44:45]
	v_add_f64 v[24:25], v[46:47], v[24:25]
	v_mul_f64 v[46:47], v[120:121], s[34:35]
	v_fma_f64 v[48:49], s[16:17], v[116:117], v[46:47]
	;; [unrolled: 6-line block ×3, first 2 shown]
	v_add_f64 v[28:29], v[52:53], v[28:29]
	v_mul_f64 v[52:53], v[150:151], s[28:29]
	v_fma_f64 v[54:55], v[142:143], s[22:23], -v[52:53]
	v_add_f64 v[84:85], v[54:55], v[24:25]
	v_mul_f64 v[24:25], v[148:149], s[28:29]
	v_fmac_f64_e32 v[22:23], s[20:21], v[2:3]
	v_fma_f64 v[54:55], s[22:23], v[140:141], v[24:25]
	v_add_f64 v[22:23], v[22:23], v[30:31]
	v_fma_f64 v[26:27], v[0:1], s[20:21], -v[26:27]
	v_fmac_f64_e32 v[32:33], s[30:31], v[10:11]
	v_add_f64 v[86:87], v[54:55], v[28:29]
	v_add_f64 v[26:27], v[26:27], v[172:173]
	;; [unrolled: 1-line block ×3, first 2 shown]
	v_fma_f64 v[28:29], v[8:9], s[30:31], -v[34:35]
	v_fmac_f64_e32 v[36:37], s[18:19], v[18:19]
	v_add_f64 v[26:27], v[28:29], v[26:27]
	v_add_f64 v[22:23], v[36:37], v[22:23]
	v_fma_f64 v[28:29], v[16:17], s[18:19], -v[38:39]
	v_fmac_f64_e32 v[40:41], s[14:15], v[114:115]
	v_add_f64 v[26:27], v[28:29], v[26:27]
	v_add_f64 v[22:23], v[40:41], v[22:23]
	;; [unrolled: 4-line block ×5, first 2 shown]
	v_fma_f64 v[22:23], v[140:141], s[22:23], -v[24:25]
	v_add_f64 v[82:83], v[22:23], v[26:27]
	v_mul_f64 v[22:23], v[6:7], s[38:39]
	v_fma_f64 v[24:25], v[2:3], s[30:31], -v[22:23]
	v_mul_f64 v[30:31], v[14:15], s[50:51]
	v_add_f64 v[24:25], v[24:25], v[94:95]
	v_mul_f64 v[26:27], v[4:5], s[38:39]
	v_fma_f64 v[32:33], v[10:11], s[18:19], -v[30:31]
	v_fma_f64 v[28:29], s[30:31], v[0:1], v[26:27]
	v_add_f64 v[24:25], v[32:33], v[24:25]
	v_mul_f64 v[32:33], v[12:13], s[50:51]
	v_add_f64 v[28:29], v[28:29], v[92:93]
	v_fma_f64 v[34:35], s[18:19], v[8:9], v[32:33]
	v_add_f64 v[28:29], v[34:35], v[28:29]
	v_mul_f64 v[34:35], v[106:107], s[44:45]
	v_fma_f64 v[36:37], v[18:19], s[16:17], -v[34:35]
	v_add_f64 v[24:25], v[36:37], v[24:25]
	v_mul_f64 v[36:37], v[104:105], s[44:45]
	v_fma_f64 v[38:39], s[16:17], v[16:17], v[36:37]
	v_add_f64 v[28:29], v[38:39], v[28:29]
	v_mul_f64 v[38:39], v[110:111], s[46:47]
	v_fma_f64 v[40:41], v[114:115], s[12:13], -v[38:39]
	v_add_f64 v[24:25], v[40:41], v[24:25]
	v_mul_f64 v[40:41], v[108:109], s[46:47]
	;; [unrolled: 6-line block ×3, first 2 shown]
	v_fma_f64 v[46:47], s[22:23], v[116:117], v[44:45]
	s_mov_b32 s55, 0x3fe9895b
	s_mov_b32 s54, s26
	v_add_f64 v[28:29], v[46:47], v[28:29]
	v_mul_f64 v[46:47], v[138:139], s[54:55]
	v_fma_f64 v[48:49], v[126:127], s[20:21], -v[46:47]
	v_add_f64 v[24:25], v[48:49], v[24:25]
	v_mul_f64 v[48:49], v[136:137], s[54:55]
	v_fma_f64 v[50:51], s[20:21], v[124:125], v[48:49]
	v_add_f64 v[28:29], v[50:51], v[28:29]
	v_mul_f64 v[50:51], v[150:151], s[48:49]
	v_fma_f64 v[52:53], v[142:143], s[14:15], -v[50:51]
	v_add_f64 v[92:93], v[52:53], v[24:25]
	v_mul_f64 v[24:25], v[148:149], s[48:49]
	v_fmac_f64_e32 v[22:23], s[30:31], v[2:3]
	v_fma_f64 v[52:53], s[14:15], v[140:141], v[24:25]
	v_add_f64 v[22:23], v[22:23], v[90:91]
	v_fma_f64 v[26:27], v[0:1], s[30:31], -v[26:27]
	v_fmac_f64_e32 v[30:31], s[18:19], v[10:11]
	v_add_f64 v[94:95], v[52:53], v[28:29]
	v_add_f64 v[26:27], v[26:27], v[88:89]
	;; [unrolled: 1-line block ×3, first 2 shown]
	v_fma_f64 v[28:29], v[8:9], s[18:19], -v[32:33]
	v_fmac_f64_e32 v[34:35], s[16:17], v[18:19]
	v_add_f64 v[26:27], v[28:29], v[26:27]
	v_add_f64 v[22:23], v[34:35], v[22:23]
	v_fma_f64 v[28:29], v[16:17], s[16:17], -v[36:37]
	v_fmac_f64_e32 v[38:39], s[12:13], v[114:115]
	v_add_f64 v[26:27], v[28:29], v[26:27]
	v_add_f64 v[22:23], v[38:39], v[22:23]
	;; [unrolled: 4-line block ×5, first 2 shown]
	v_fma_f64 v[22:23], v[140:141], s[14:15], -v[24:25]
	v_add_f64 v[90:91], v[22:23], v[26:27]
	v_mul_f64 v[22:23], v[6:7], s[52:53]
	v_fma_f64 v[24:25], v[2:3], s[22:23], -v[22:23]
	v_mul_f64 v[30:31], v[14:15], s[48:49]
	v_add_f64 v[24:25], v[24:25], v[102:103]
	v_mul_f64 v[26:27], v[4:5], s[52:53]
	v_fma_f64 v[32:33], v[10:11], s[14:15], -v[30:31]
	v_fma_f64 v[28:29], s[22:23], v[0:1], v[26:27]
	v_add_f64 v[24:25], v[32:33], v[24:25]
	v_mul_f64 v[32:33], v[12:13], s[48:49]
	v_add_f64 v[28:29], v[28:29], v[100:101]
	v_fma_f64 v[34:35], s[14:15], v[8:9], v[32:33]
	v_add_f64 v[28:29], v[34:35], v[28:29]
	v_mul_f64 v[34:35], v[106:107], s[46:47]
	v_fma_f64 v[36:37], v[18:19], s[12:13], -v[34:35]
	v_add_f64 v[24:25], v[36:37], v[24:25]
	v_mul_f64 v[36:37], v[104:105], s[46:47]
	v_fma_f64 v[38:39], s[12:13], v[16:17], v[36:37]
	v_add_f64 v[28:29], v[38:39], v[28:29]
	v_mul_f64 v[38:39], v[110:111], s[38:39]
	v_fma_f64 v[40:41], v[114:115], s[30:31], -v[38:39]
	v_add_f64 v[24:25], v[40:41], v[24:25]
	v_mul_f64 v[40:41], v[108:109], s[38:39]
	v_fma_f64 v[42:43], s[30:31], v[112:113], v[40:41]
	s_mov_b32 s47, 0x3fefdd0d
	s_mov_b32 s46, s36
	v_add_f64 v[28:29], v[42:43], v[28:29]
	v_mul_f64 v[42:43], v[122:123], s[46:47]
	v_fma_f64 v[44:45], v[118:119], s[2:3], -v[42:43]
	v_add_f64 v[24:25], v[44:45], v[24:25]
	v_mul_f64 v[44:45], v[120:121], s[46:47]
	v_fma_f64 v[46:47], s[2:3], v[116:117], v[44:45]
	v_add_f64 v[28:29], v[46:47], v[28:29]
	v_mul_f64 v[46:47], v[138:139], s[34:35]
	v_fma_f64 v[48:49], v[126:127], s[16:17], -v[46:47]
	v_add_f64 v[24:25], v[48:49], v[24:25]
	v_mul_f64 v[48:49], v[136:137], s[34:35]
	v_fma_f64 v[50:51], s[16:17], v[124:125], v[48:49]
	v_add_f64 v[28:29], v[50:51], v[28:29]
	v_mul_f64 v[50:51], v[150:151], s[26:27]
	v_fma_f64 v[52:53], v[142:143], s[20:21], -v[50:51]
	v_add_f64 v[100:101], v[52:53], v[24:25]
	v_mul_f64 v[24:25], v[148:149], s[26:27]
	v_fmac_f64_e32 v[22:23], s[22:23], v[2:3]
	v_fma_f64 v[52:53], s[20:21], v[140:141], v[24:25]
	v_add_f64 v[22:23], v[22:23], v[98:99]
	v_fma_f64 v[26:27], v[0:1], s[22:23], -v[26:27]
	v_fmac_f64_e32 v[30:31], s[14:15], v[10:11]
	v_add_f64 v[102:103], v[52:53], v[28:29]
	v_add_f64 v[26:27], v[26:27], v[96:97]
	v_add_f64 v[22:23], v[30:31], v[22:23]
	v_fma_f64 v[28:29], v[8:9], s[14:15], -v[32:33]
	v_fmac_f64_e32 v[34:35], s[12:13], v[18:19]
	v_add_f64 v[26:27], v[28:29], v[26:27]
	v_add_f64 v[22:23], v[34:35], v[22:23]
	v_fma_f64 v[28:29], v[16:17], s[12:13], -v[36:37]
	v_fmac_f64_e32 v[38:39], s[30:31], v[114:115]
	v_add_f64 v[26:27], v[28:29], v[26:27]
	v_add_f64 v[22:23], v[38:39], v[22:23]
	;; [unrolled: 4-line block ×5, first 2 shown]
	v_fma_f64 v[22:23], v[140:141], s[20:21], -v[24:25]
	v_add_f64 v[98:99], v[22:23], v[26:27]
	v_mul_f64 v[22:23], v[6:7], s[50:51]
	v_fma_f64 v[24:25], v[2:3], s[18:19], -v[22:23]
	v_mul_f64 v[30:31], v[14:15], s[34:35]
	v_add_f64 v[24:25], v[24:25], v[170:171]
	v_mul_f64 v[28:29], v[4:5], s[50:51]
	v_fma_f64 v[32:33], v[10:11], s[16:17], -v[30:31]
	v_fma_f64 v[26:27], s[18:19], v[0:1], v[28:29]
	v_add_f64 v[24:25], v[32:33], v[24:25]
	v_mul_f64 v[32:33], v[12:13], s[34:35]
	v_add_f64 v[26:27], v[26:27], v[168:169]
	v_fma_f64 v[34:35], s[16:17], v[8:9], v[32:33]
	v_add_f64 v[26:27], v[34:35], v[26:27]
	v_mul_f64 v[34:35], v[106:107], s[28:29]
	v_fma_f64 v[36:37], v[18:19], s[22:23], -v[34:35]
	v_add_f64 v[24:25], v[36:37], v[24:25]
	v_mul_f64 v[36:37], v[104:105], s[28:29]
	v_fma_f64 v[38:39], s[22:23], v[16:17], v[36:37]
	v_add_f64 v[26:27], v[38:39], v[26:27]
	v_mul_f64 v[38:39], v[110:111], s[46:47]
	v_fma_f64 v[40:41], v[114:115], s[2:3], -v[38:39]
	v_add_f64 v[24:25], v[40:41], v[24:25]
	v_mul_f64 v[40:41], v[108:109], s[46:47]
	v_fma_f64 v[42:43], s[2:3], v[112:113], v[40:41]
	v_add_f64 v[26:27], v[42:43], v[26:27]
	v_mul_f64 v[42:43], v[122:123], s[40:41]
	v_fma_f64 v[44:45], v[118:119], s[14:15], -v[42:43]
	v_add_f64 v[24:25], v[44:45], v[24:25]
	v_mul_f64 v[44:45], v[120:121], s[40:41]
	v_fma_f64 v[46:47], s[14:15], v[116:117], v[44:45]
	v_add_f64 v[26:27], v[46:47], v[26:27]
	v_mul_f64 v[46:47], v[138:139], s[38:39]
	v_fmac_f64_e32 v[22:23], s[18:19], v[2:3]
	v_fma_f64 v[48:49], v[126:127], s[30:31], -v[46:47]
	v_add_f64 v[22:23], v[22:23], v[166:167]
	v_fma_f64 v[28:29], v[0:1], s[18:19], -v[28:29]
	v_fmac_f64_e32 v[30:31], s[16:17], v[10:11]
	v_add_f64 v[24:25], v[48:49], v[24:25]
	v_mul_f64 v[48:49], v[136:137], s[38:39]
	v_add_f64 v[28:29], v[28:29], v[164:165]
	v_add_f64 v[22:23], v[30:31], v[22:23]
	v_fma_f64 v[30:31], v[8:9], s[16:17], -v[32:33]
	v_fmac_f64_e32 v[34:35], s[22:23], v[18:19]
	v_fma_f64 v[50:51], s[30:31], v[124:125], v[48:49]
	v_add_f64 v[28:29], v[30:31], v[28:29]
	v_add_f64 v[22:23], v[34:35], v[22:23]
	v_fma_f64 v[30:31], v[16:17], s[22:23], -v[36:37]
	v_fmac_f64_e32 v[38:39], s[2:3], v[114:115]
	v_add_f64 v[26:27], v[50:51], v[26:27]
	v_mul_f64 v[50:51], v[150:151], s[42:43]
	v_add_f64 v[28:29], v[30:31], v[28:29]
	v_add_f64 v[22:23], v[38:39], v[22:23]
	v_fma_f64 v[30:31], v[112:113], s[2:3], -v[40:41]
	v_fmac_f64_e32 v[42:43], s[14:15], v[118:119]
	v_fma_f64 v[52:53], v[142:143], s[12:13], -v[50:51]
	v_add_f64 v[28:29], v[30:31], v[28:29]
	v_add_f64 v[22:23], v[42:43], v[22:23]
	v_fma_f64 v[30:31], v[116:117], s[14:15], -v[44:45]
	v_fmac_f64_e32 v[46:47], s[30:31], v[126:127]
	v_add_f64 v[24:25], v[52:53], v[24:25]
	v_mul_f64 v[52:53], v[148:149], s[42:43]
	v_add_f64 v[28:29], v[30:31], v[28:29]
	v_add_f64 v[22:23], v[46:47], v[22:23]
	v_fma_f64 v[30:31], v[124:125], s[30:31], -v[48:49]
	v_fmac_f64_e32 v[50:51], s[12:13], v[142:143]
	v_add_f64 v[28:29], v[30:31], v[28:29]
	v_add_f64 v[164:165], v[50:51], v[22:23]
	v_fma_f64 v[22:23], v[140:141], s[12:13], -v[52:53]
	v_add_f64 v[166:167], v[22:23], v[28:29]
	v_mul_f64 v[22:23], v[6:7], s[42:43]
	v_fma_f64 v[28:29], v[2:3], s[12:13], -v[22:23]
	v_mul_f64 v[34:35], v[14:15], s[36:37]
	v_add_f64 v[28:29], v[28:29], v[162:163]
	v_mul_f64 v[30:31], v[4:5], s[42:43]
	v_fma_f64 v[36:37], v[10:11], s[2:3], -v[34:35]
	v_fma_f64 v[32:33], s[12:13], v[0:1], v[30:31]
	v_add_f64 v[28:29], v[36:37], v[28:29]
	v_mul_f64 v[36:37], v[12:13], s[36:37]
	v_add_f64 v[32:33], v[32:33], v[160:161]
	v_fma_f64 v[38:39], s[2:3], v[8:9], v[36:37]
	v_add_f64 v[32:33], v[38:39], v[32:33]
	v_mul_f64 v[38:39], v[106:107], s[54:55]
	v_fma_f64 v[40:41], v[18:19], s[20:21], -v[38:39]
	v_add_f64 v[28:29], v[40:41], v[28:29]
	v_mul_f64 v[40:41], v[104:105], s[54:55]
	v_fma_f64 v[42:43], s[20:21], v[16:17], v[40:41]
	v_add_f64 v[32:33], v[42:43], v[32:33]
	v_mul_f64 v[42:43], v[110:111], s[34:35]
	v_fma_f64 v[44:45], v[114:115], s[16:17], -v[42:43]
	v_add_f64 v[28:29], v[44:45], v[28:29]
	v_mul_f64 v[44:45], v[108:109], s[34:35]
	;; [unrolled: 6-line block ×3, first 2 shown]
	v_fma_f64 v[50:51], s[30:31], v[116:117], v[48:49]
	v_add_f64 v[32:33], v[50:51], v[32:33]
	v_mul_f64 v[50:51], v[138:139], s[48:49]
	v_fma_f64 v[54:55], s[12:13], v[140:141], v[52:53]
	v_fma_f64 v[52:53], v[126:127], s[14:15], -v[50:51]
	v_add_f64 v[28:29], v[52:53], v[28:29]
	v_mul_f64 v[52:53], v[136:137], s[48:49]
	v_add_f64 v[26:27], v[54:55], v[26:27]
	v_fma_f64 v[54:55], s[14:15], v[124:125], v[52:53]
	v_add_f64 v[32:33], v[54:55], v[32:33]
	v_mul_f64 v[54:55], v[150:151], s[24:25]
	v_fma_f64 v[56:57], v[142:143], s[18:19], -v[54:55]
	v_add_f64 v[160:161], v[56:57], v[28:29]
	v_mul_f64 v[28:29], v[148:149], s[24:25]
	v_fmac_f64_e32 v[22:23], s[12:13], v[2:3]
	v_fma_f64 v[56:57], s[18:19], v[140:141], v[28:29]
	v_add_f64 v[22:23], v[22:23], v[158:159]
	v_fma_f64 v[30:31], v[0:1], s[12:13], -v[30:31]
	v_fmac_f64_e32 v[34:35], s[2:3], v[10:11]
	v_add_f64 v[162:163], v[56:57], v[32:33]
	v_add_f64 v[30:31], v[30:31], v[156:157]
	;; [unrolled: 1-line block ×3, first 2 shown]
	v_fma_f64 v[32:33], v[8:9], s[2:3], -v[36:37]
	v_fmac_f64_e32 v[38:39], s[20:21], v[18:19]
	v_add_f64 v[30:31], v[32:33], v[30:31]
	v_add_f64 v[22:23], v[38:39], v[22:23]
	v_fma_f64 v[32:33], v[16:17], s[20:21], -v[40:41]
	v_fmac_f64_e32 v[42:43], s[16:17], v[114:115]
	v_add_f64 v[30:31], v[32:33], v[30:31]
	v_add_f64 v[22:23], v[42:43], v[22:23]
	;; [unrolled: 4-line block ×5, first 2 shown]
	v_fma_f64 v[22:23], v[140:141], s[18:19], -v[28:29]
	v_add_f64 v[158:159], v[22:23], v[30:31]
	v_mul_f64 v[22:23], v[6:7], s[44:45]
	v_fma_f64 v[6:7], v[2:3], s[16:17], -v[22:23]
	v_mul_f64 v[28:29], v[4:5], s[44:45]
	v_mul_f64 v[14:15], v[14:15], s[28:29]
	v_add_f64 v[6:7], v[6:7], v[154:155]
	v_fma_f64 v[4:5], s[16:17], v[0:1], v[28:29]
	v_fma_f64 v[30:31], v[10:11], s[22:23], -v[14:15]
	v_mul_f64 v[12:13], v[12:13], s[28:29]
	v_add_f64 v[4:5], v[4:5], v[152:153]
	v_add_f64 v[6:7], v[30:31], v[6:7]
	v_fma_f64 v[30:31], s[22:23], v[8:9], v[12:13]
	v_add_f64 v[4:5], v[30:31], v[4:5]
	v_mul_f64 v[30:31], v[106:107], s[48:49]
	v_fma_f64 v[32:33], v[18:19], s[14:15], -v[30:31]
	v_add_f64 v[6:7], v[32:33], v[6:7]
	v_mul_f64 v[32:33], v[104:105], s[48:49]
	v_fma_f64 v[34:35], s[14:15], v[16:17], v[32:33]
	v_add_f64 v[4:5], v[34:35], v[4:5]
	v_mul_f64 v[34:35], v[110:111], s[26:27]
	v_fma_f64 v[36:37], v[114:115], s[20:21], -v[34:35]
	v_add_f64 v[6:7], v[36:37], v[6:7]
	v_mul_f64 v[36:37], v[108:109], s[26:27]
	;; [unrolled: 6-line block ×3, first 2 shown]
	v_fmac_f64_e32 v[22:23], s[16:17], v[2:3]
	v_fma_f64 v[0:1], v[0:1], s[16:17], -v[28:29]
	v_fma_f64 v[42:43], s[12:13], v[116:117], v[40:41]
	v_add_f64 v[2:3], v[22:23], v[130:131]
	v_add_f64 v[0:1], v[0:1], v[128:129]
	v_fmac_f64_e32 v[14:15], s[22:23], v[10:11]
	v_fma_f64 v[8:9], v[8:9], s[22:23], -v[12:13]
	v_add_f64 v[4:5], v[42:43], v[4:5]
	v_mul_f64 v[42:43], v[138:139], s[24:25]
	v_add_f64 v[2:3], v[14:15], v[2:3]
	v_add_f64 v[0:1], v[8:9], v[0:1]
	v_fmac_f64_e32 v[30:31], s[14:15], v[18:19]
	v_fma_f64 v[8:9], v[16:17], s[14:15], -v[32:33]
	v_fma_f64 v[44:45], v[126:127], s[18:19], -v[42:43]
	v_add_f64 v[2:3], v[30:31], v[2:3]
	v_add_f64 v[0:1], v[8:9], v[0:1]
	v_fmac_f64_e32 v[34:35], s[20:21], v[114:115]
	v_fma_f64 v[8:9], v[112:113], s[20:21], -v[36:37]
	v_add_f64 v[6:7], v[44:45], v[6:7]
	v_mul_f64 v[44:45], v[136:137], s[24:25]
	v_add_f64 v[2:3], v[34:35], v[2:3]
	v_add_f64 v[0:1], v[8:9], v[0:1]
	v_fmac_f64_e32 v[38:39], s[12:13], v[118:119]
	v_fma_f64 v[8:9], v[116:117], s[12:13], -v[40:41]
	v_fma_f64 v[46:47], s[18:19], v[124:125], v[44:45]
	v_mul_f64 v[48:49], v[150:151], s[46:47]
	v_mul_f64 v[50:51], v[148:149], s[46:47]
	v_add_f64 v[2:3], v[38:39], v[2:3]
	v_add_f64 v[0:1], v[8:9], v[0:1]
	v_fmac_f64_e32 v[42:43], s[18:19], v[126:127]
	v_fma_f64 v[8:9], v[124:125], s[18:19], -v[44:45]
	v_add_f64 v[46:47], v[46:47], v[4:5]
	v_fma_f64 v[4:5], v[142:143], s[2:3], -v[48:49]
	v_add_f64 v[2:3], v[42:43], v[2:3]
	v_add_f64 v[8:9], v[8:9], v[0:1]
	v_fmac_f64_e32 v[48:49], s[2:3], v[142:143]
	v_fma_f64 v[10:11], v[140:141], s[2:3], -v[50:51]
	v_add_f64 v[4:5], v[4:5], v[6:7]
	v_fma_f64 v[6:7], s[2:3], v[140:141], v[50:51]
	v_add_f64 v[0:1], v[48:49], v[2:3]
	v_add_f64 v[2:3], v[10:11], v[8:9]
	v_mul_lo_u16_e32 v8, 17, v60
	v_add_f64 v[6:7], v[6:7], v[46:47]
	v_lshlrev_b32_e32 v23, 4, v8
	s_barrier
	ds_write_b128 v23, v[68:71]
	ds_write_b128 v23, v[72:75] offset:16
	ds_write_b128 v23, v[76:79] offset:32
	;; [unrolled: 1-line block ×16, first 2 shown]
	s_waitcnt lgkmcnt(0)
	s_barrier
	ds_read_b128 v[156:159], v20
	ds_read_b128 v[152:155], v20 offset:1360
	ds_read_b128 v[4:7], v20 offset:9248
	;; [unrolled: 1-line block ×14, first 2 shown]
	s_load_dwordx2 s[2:3], s[0:1], 0x38
	v_accvgpr_write_b32 a32, v62
	v_accvgpr_write_b32 a33, v63
	;; [unrolled: 1-line block ×4, first 2 shown]
	v_cmp_gt_u16_e32 vcc, 34, v60
                                        ; implicit-def: $vgpr136_vgpr137
                                        ; implicit-def: $vgpr140_vgpr141
                                        ; implicit-def: $vgpr160_vgpr161
	s_and_saveexec_b64 s[0:1], vcc
	s_cbranch_execz .LBB0_3
; %bb.2:
	ds_read_b128 v[144:147], v20 offset:4080
	ds_read_b128 v[132:135], v20 offset:8704
	;; [unrolled: 1-line block ×5, first 2 shown]
.LBB0_3:
	s_or_b64 exec, exec, s[0:1]
	s_movk_i32 s0, 0xf1
	v_mul_lo_u16_sdwa v8, v60, s0 dst_sel:DWORD dst_unused:UNUSED_PAD src0_sel:BYTE_0 src1_sel:DWORD
	v_lshrrev_b16_e32 v21, 12, v8
	v_mul_lo_u16_e32 v8, 17, v21
	v_sub_u16_e32 v8, v60, v8
	v_and_b32_e32 v22, 0xff, v8
	v_lshlrev_b32_e32 v8, 6, v22
	global_load_dwordx4 v[12:15], v8, s[10:11] offset:48
	global_load_dwordx4 v[24:27], v8, s[10:11] offset:32
	;; [unrolled: 1-line block ×3, first 2 shown]
	global_load_dwordx4 v[96:99], v8, s[10:11]
	s_mov_b32 s12, 0x4755a5e
	s_mov_b32 s17, 0xbfee6f0e
	;; [unrolled: 1-line block ×7, first 2 shown]
	v_mul_u32_u24_e32 v21, 0x55, v21
	v_add_lshl_u32 v21, v21, v22, 4
	v_accvgpr_write_b32 a96, v21
	s_waitcnt vmcnt(3)
	v_accvgpr_write_b32 a91, v15
	s_waitcnt vmcnt(2)
	v_accvgpr_write_b32 a95, v27
	s_waitcnt vmcnt(1) lgkmcnt(0)
	v_mul_f64 v[10:11], v[6:7], v[94:95]
	v_fma_f64 v[174:175], v[4:5], v[92:93], -v[10:11]
	v_mul_f64 v[10:11], v[2:3], v[14:15]
	v_mul_f64 v[4:5], v[4:5], v[94:95]
	v_fma_f64 v[170:171], v[0:1], v[12:13], -v[10:11]
	v_mul_f64 v[0:1], v[0:1], v[14:15]
	v_fmac_f64_e32 v[4:5], v[6:7], v[92:93]
	v_mul_f64 v[6:7], v[106:107], v[26:27]
	v_fmac_f64_e32 v[0:1], v[2:3], v[12:13]
	v_add_u16_e32 v2, 0x55, v60
	v_fma_f64 v[176:177], v[104:105], v[24:25], -v[6:7]
	v_mul_f64 v[6:7], v[104:105], v[26:27]
	v_mul_lo_u16_sdwa v3, v2, s0 dst_sel:DWORD dst_unused:UNUSED_PAD src0_sel:BYTE_0 src1_sel:DWORD
	v_accvgpr_write_b32 a94, v26
	v_accvgpr_write_b32 a93, v25
	;; [unrolled: 1-line block ×3, first 2 shown]
	v_fmac_f64_e32 v[6:7], v[106:107], v[24:25]
	v_lshrrev_b16_e32 v24, 12, v3
	v_mul_lo_u16_e32 v3, 17, v24
	v_sub_u16_e32 v2, v2, v3
	s_waitcnt vmcnt(0)
	v_mul_f64 v[8:9], v[102:103], v[98:99]
	v_and_b32_e32 v25, 0xff, v2
	v_fma_f64 v[18:19], v[100:101], v[96:97], -v[8:9]
	v_mul_f64 v[8:9], v[100:101], v[98:99]
	v_lshlrev_b32_e32 v2, 6, v25
	v_fmac_f64_e32 v[8:9], v[102:103], v[96:97]
	global_load_dwordx4 v[100:103], v2, s[10:11] offset:48
	global_load_dwordx4 v[104:107], v2, s[10:11] offset:32
	;; [unrolled: 1-line block ×3, first 2 shown]
	global_load_dwordx4 v[112:115], v2, s[10:11]
	v_add_u16_e32 v27, 0xaa, v60
	v_mul_lo_u16_sdwa v26, v27, s0 dst_sel:DWORD dst_unused:UNUSED_PAD src0_sel:BYTE_0 src1_sel:DWORD
	v_lshrrev_b16_e32 v26, 12, v26
	v_mul_lo_u16_e32 v28, 17, v26
	v_sub_u16_e32 v27, v27, v28
	v_accvgpr_write_b32 a90, v14
	v_accvgpr_write_b32 a89, v13
	;; [unrolled: 1-line block ×3, first 2 shown]
	v_and_b32_e32 v27, 0xff, v27
	v_lshlrev_b32_e32 v28, 6, v27
	s_mov_b32 s0, 0x134454ff
	s_mov_b32 s1, 0x3fee6f0e
	;; [unrolled: 1-line block ×3, first 2 shown]
	s_waitcnt vmcnt(3)
	v_mul_f64 v[16:17], v[118:119], v[102:103]
	s_waitcnt vmcnt(2)
	v_mul_f64 v[14:15], v[130:131], v[106:107]
	;; [unrolled: 2-line block ×4, first 2 shown]
	v_mul_f64 v[10:11], v[124:125], v[114:115]
	v_fma_f64 v[192:193], v[120:121], v[108:109], -v[12:13]
	v_mul_f64 v[12:13], v[120:121], v[110:111]
	v_fma_f64 v[196:197], v[128:129], v[104:105], -v[14:15]
	;; [unrolled: 2-line block ×4, first 2 shown]
	v_fmac_f64_e32 v[10:11], v[126:127], v[112:113]
	v_fmac_f64_e32 v[12:13], v[122:123], v[108:109]
	v_fmac_f64_e32 v[14:15], v[130:131], v[104:105]
	v_fmac_f64_e32 v[16:17], v[118:119], v[100:101]
	global_load_dwordx4 v[116:119], v28, s[10:11] offset:48
	global_load_dwordx4 v[120:123], v28, s[10:11] offset:32
	;; [unrolled: 1-line block ×3, first 2 shown]
	global_load_dwordx4 v[128:131], v28, s[10:11]
	s_waitcnt vmcnt(3)
	v_mul_f64 v[198:199], v[68:69], v[118:119]
	s_waitcnt vmcnt(2)
	v_mul_f64 v[194:195], v[76:77], v[122:123]
	;; [unrolled: 2-line block ×4, first 2 shown]
	v_fma_f64 v[200:201], v[72:73], v[128:129], -v[28:29]
	v_mul_f64 v[28:29], v[82:83], v[126:127]
	v_fma_f64 v[202:203], v[80:81], v[124:125], -v[28:29]
	v_mul_f64 v[28:29], v[78:79], v[122:123]
	;; [unrolled: 2-line block ×3, first 2 shown]
	v_fma_f64 v[206:207], v[68:69], v[116:117], -v[28:29]
	v_add_u16_e32 v28, 0xff, v60
	v_mul_u32_u24_e32 v29, 0xf0f1, v28
	v_lshrrev_b32_e32 v29, 20, v29
	v_accvgpr_write_b32 a1, v29
	v_mul_lo_u16_e32 v29, 17, v29
	v_sub_u16_e32 v28, v28, v29
	v_accvgpr_write_b32 a3, v28
	v_lshlrev_b16_e32 v28, 2, v28
	v_lshlrev_b32_e32 v28, 4, v28
	global_load_dwordx4 v[30:33], v28, s[10:11] offset:48
	global_load_dwordx4 v[34:37], v28, s[10:11] offset:32
	;; [unrolled: 1-line block ×3, first 2 shown]
	global_load_dwordx4 v[42:45], v28, s[10:11]
	v_mul_f64 v[188:189], v[72:73], v[130:131]
	v_fmac_f64_e32 v[188:189], v[74:75], v[128:129]
	v_fmac_f64_e32 v[198:199], v[70:71], v[116:117]
	;; [unrolled: 1-line block ×4, first 2 shown]
	s_barrier
	s_waitcnt vmcnt(3)
	v_mul_f64 v[222:223], v[160:161], v[32:33]
	s_waitcnt vmcnt(2)
	v_mul_f64 v[220:221], v[140:141], v[36:37]
	v_accvgpr_write_b32 a79, v37
	s_waitcnt vmcnt(0)
	v_mul_f64 v[28:29], v[134:135], v[44:45]
	v_fma_f64 v[208:209], v[132:133], v[42:43], -v[28:29]
	v_mul_f64 v[28:29], v[138:139], v[40:41]
	v_fma_f64 v[210:211], v[136:137], v[38:39], -v[28:29]
	;; [unrolled: 2-line block ×4, first 2 shown]
	v_add_f64 v[28:29], v[156:157], v[18:19]
	v_add_f64 v[28:29], v[28:29], v[174:175]
	;; [unrolled: 1-line block ×5, first 2 shown]
	v_accvgpr_write_b32 a75, v33
	v_fma_f64 v[160:161], -0.5, v[28:29], v[156:157]
	v_add_f64 v[28:29], v[8:9], -v[0:1]
	v_accvgpr_write_b32 a78, v36
	v_accvgpr_write_b32 a77, v35
	;; [unrolled: 1-line block ×3, first 2 shown]
	v_fmac_f64_e32 v[220:221], v[142:143], v[34:35]
	v_accvgpr_write_b32 a74, v32
	v_accvgpr_write_b32 a73, v31
	;; [unrolled: 1-line block ×3, first 2 shown]
	v_fmac_f64_e32 v[222:223], v[162:163], v[30:31]
	v_fma_f64 v[168:169], s[0:1], v[28:29], v[160:161]
	v_add_f64 v[30:31], v[4:5], -v[6:7]
	v_add_f64 v[32:33], v[18:19], -v[174:175]
	;; [unrolled: 1-line block ×3, first 2 shown]
	v_fmac_f64_e32 v[160:161], s[16:17], v[28:29]
	v_fmac_f64_e32 v[168:169], s[12:13], v[30:31]
	v_add_f64 v[32:33], v[32:33], v[34:35]
	v_fmac_f64_e32 v[160:161], s[18:19], v[30:31]
	v_fmac_f64_e32 v[168:169], s[14:15], v[32:33]
	;; [unrolled: 1-line block ×3, first 2 shown]
	v_add_f64 v[32:33], v[18:19], v[170:171]
	v_fmac_f64_e32 v[156:157], -0.5, v[32:33]
	v_fma_f64 v[172:173], s[16:17], v[30:31], v[156:157]
	v_fmac_f64_e32 v[156:157], s[0:1], v[30:31]
	v_fmac_f64_e32 v[172:173], s[12:13], v[28:29]
	v_fmac_f64_e32 v[156:157], s[18:19], v[28:29]
	v_add_f64 v[28:29], v[158:159], v[8:9]
	v_add_f64 v[28:29], v[28:29], v[4:5]
	v_add_f64 v[28:29], v[28:29], v[6:7]
	v_add_f64 v[32:33], v[174:175], -v[18:19]
	v_add_f64 v[34:35], v[176:177], -v[170:171]
	v_add_f64 v[166:167], v[28:29], v[0:1]
	v_add_f64 v[28:29], v[4:5], v[6:7]
	;; [unrolled: 1-line block ×3, first 2 shown]
	v_fma_f64 v[162:163], -0.5, v[28:29], v[158:159]
	v_add_f64 v[18:19], v[18:19], -v[170:171]
	v_fmac_f64_e32 v[172:173], s[14:15], v[32:33]
	v_fmac_f64_e32 v[156:157], s[14:15], v[32:33]
	v_fma_f64 v[170:171], s[16:17], v[18:19], v[162:163]
	v_add_f64 v[28:29], v[174:175], -v[176:177]
	v_add_f64 v[30:31], v[8:9], -v[4:5]
	;; [unrolled: 1-line block ×3, first 2 shown]
	v_fmac_f64_e32 v[162:163], s[0:1], v[18:19]
	v_fmac_f64_e32 v[170:171], s[18:19], v[28:29]
	v_add_f64 v[30:31], v[30:31], v[32:33]
	v_fmac_f64_e32 v[162:163], s[12:13], v[28:29]
	v_fmac_f64_e32 v[170:171], s[14:15], v[30:31]
	;; [unrolled: 1-line block ×3, first 2 shown]
	v_add_f64 v[30:31], v[8:9], v[0:1]
	v_fmac_f64_e32 v[158:159], -0.5, v[30:31]
	v_fma_f64 v[174:175], s[0:1], v[28:29], v[158:159]
	v_add_f64 v[4:5], v[4:5], -v[8:9]
	v_add_f64 v[0:1], v[6:7], -v[0:1]
	v_fmac_f64_e32 v[158:159], s[16:17], v[28:29]
	v_fmac_f64_e32 v[174:175], s[18:19], v[18:19]
	v_add_f64 v[0:1], v[4:5], v[0:1]
	v_fmac_f64_e32 v[158:159], s[12:13], v[18:19]
	v_fmac_f64_e32 v[174:175], s[14:15], v[0:1]
	;; [unrolled: 1-line block ×3, first 2 shown]
	v_add_f64 v[0:1], v[152:153], v[2:3]
	v_add_f64 v[0:1], v[0:1], v[192:193]
	;; [unrolled: 1-line block ×5, first 2 shown]
	v_fma_f64 v[176:177], -0.5, v[0:1], v[152:153]
	v_add_f64 v[4:5], v[10:11], -v[16:17]
	v_fma_f64 v[184:185], s[0:1], v[4:5], v[176:177]
	v_add_f64 v[6:7], v[12:13], -v[14:15]
	v_add_f64 v[0:1], v[2:3], -v[192:193]
	v_add_f64 v[8:9], v[186:187], -v[196:197]
	v_fmac_f64_e32 v[176:177], s[16:17], v[4:5]
	v_fmac_f64_e32 v[184:185], s[12:13], v[6:7]
	v_add_f64 v[0:1], v[0:1], v[8:9]
	v_fmac_f64_e32 v[176:177], s[18:19], v[6:7]
	v_fmac_f64_e32 v[184:185], s[14:15], v[0:1]
	v_fmac_f64_e32 v[176:177], s[14:15], v[0:1]
	v_add_f64 v[0:1], v[2:3], v[186:187]
	v_fmac_f64_e32 v[152:153], -0.5, v[0:1]
	v_fma_f64 v[0:1], s[16:17], v[6:7], v[152:153]
	v_fmac_f64_e32 v[152:153], s[0:1], v[6:7]
	v_fmac_f64_e32 v[0:1], s[12:13], v[4:5]
	v_fmac_f64_e32 v[152:153], s[18:19], v[4:5]
	v_add_f64 v[4:5], v[154:155], v[10:11]
	v_add_f64 v[4:5], v[4:5], v[12:13]
	v_add_f64 v[4:5], v[4:5], v[14:15]
	v_add_f64 v[8:9], v[192:193], -v[2:3]
	v_add_f64 v[18:19], v[196:197], -v[186:187]
	v_add_f64 v[182:183], v[4:5], v[16:17]
	v_add_f64 v[4:5], v[12:13], v[14:15]
	v_add_f64 v[8:9], v[8:9], v[18:19]
	v_fma_f64 v[178:179], -0.5, v[4:5], v[154:155]
	v_add_f64 v[4:5], v[2:3], -v[186:187]
	v_fmac_f64_e32 v[0:1], s[14:15], v[8:9]
	v_fmac_f64_e32 v[152:153], s[14:15], v[8:9]
	v_fma_f64 v[186:187], s[16:17], v[4:5], v[178:179]
	v_add_f64 v[6:7], v[192:193], -v[196:197]
	v_add_f64 v[2:3], v[10:11], -v[12:13]
	v_add_f64 v[8:9], v[16:17], -v[14:15]
	v_fmac_f64_e32 v[178:179], s[0:1], v[4:5]
	v_fmac_f64_e32 v[186:187], s[18:19], v[6:7]
	v_add_f64 v[2:3], v[2:3], v[8:9]
	v_fmac_f64_e32 v[178:179], s[12:13], v[6:7]
	v_fmac_f64_e32 v[186:187], s[14:15], v[2:3]
	v_fmac_f64_e32 v[178:179], s[14:15], v[2:3]
	v_add_f64 v[2:3], v[10:11], v[16:17]
	v_fmac_f64_e32 v[154:155], -0.5, v[2:3]
	v_fma_f64 v[2:3], s[0:1], v[6:7], v[154:155]
	v_fmac_f64_e32 v[154:155], s[16:17], v[6:7]
	v_fmac_f64_e32 v[2:3], s[18:19], v[4:5]
	v_fmac_f64_e32 v[154:155], s[12:13], v[4:5]
	v_add_f64 v[4:5], v[148:149], v[200:201]
	v_add_f64 v[4:5], v[4:5], v[202:203]
	v_add_f64 v[4:5], v[4:5], v[204:205]
	v_add_f64 v[8:9], v[12:13], -v[10:11]
	v_add_f64 v[10:11], v[14:15], -v[16:17]
	v_add_f64 v[224:225], v[4:5], v[206:207]
	v_add_f64 v[4:5], v[202:203], v[204:205]
	v_add_f64 v[8:9], v[8:9], v[10:11]
	v_fma_f64 v[228:229], -0.5, v[4:5], v[148:149]
	v_add_f64 v[4:5], v[188:189], -v[198:199]
	v_fmac_f64_e32 v[2:3], s[14:15], v[8:9]
	v_fmac_f64_e32 v[154:155], s[14:15], v[8:9]
	;; [unrolled: 28-line block ×3, first 2 shown]
	v_fma_f64 v[234:235], s[16:17], v[4:5], v[230:231]
	v_add_f64 v[6:7], v[202:203], -v[204:205]
	v_add_f64 v[8:9], v[188:189], -v[190:191]
	;; [unrolled: 1-line block ×3, first 2 shown]
	v_fmac_f64_e32 v[230:231], s[0:1], v[4:5]
	v_fmac_f64_e32 v[234:235], s[18:19], v[6:7]
	v_add_f64 v[8:9], v[8:9], v[10:11]
	v_fmac_f64_e32 v[230:231], s[12:13], v[6:7]
	v_fmac_f64_e32 v[234:235], s[14:15], v[8:9]
	;; [unrolled: 1-line block ×3, first 2 shown]
	v_add_f64 v[8:9], v[188:189], v[198:199]
	v_fmac_f64_e32 v[150:151], -0.5, v[8:9]
	v_add_f64 v[8:9], v[190:191], -v[188:189]
	v_add_f64 v[10:11], v[194:195], -v[198:199]
	v_mul_f64 v[218:219], v[136:137], v[40:41]
	v_fma_f64 v[238:239], s[0:1], v[6:7], v[150:151]
	v_add_f64 v[8:9], v[8:9], v[10:11]
	v_fmac_f64_e32 v[150:151], s[16:17], v[6:7]
	v_add_f64 v[10:11], v[208:209], -v[210:211]
	v_add_f64 v[12:13], v[216:217], -v[212:213]
	v_mul_f64 v[214:215], v[132:133], v[44:45]
	v_fmac_f64_e32 v[218:219], v[138:139], v[38:39]
	v_fmac_f64_e32 v[238:239], s[18:19], v[4:5]
	v_fmac_f64_e32 v[150:151], s[12:13], v[4:5]
	v_add_f64 v[10:11], v[10:11], v[12:13]
	v_add_f64 v[12:13], v[208:209], v[216:217]
	v_fmac_f64_e32 v[214:215], v[134:135], v[42:43]
	v_fmac_f64_e32 v[238:239], s[14:15], v[8:9]
	;; [unrolled: 1-line block ×3, first 2 shown]
	v_add_f64 v[8:9], v[218:219], -v[220:221]
	v_fma_f64 v[140:141], -0.5, v[12:13], v[144:145]
	v_add_f64 v[6:7], v[214:215], -v[222:223]
	v_fma_f64 v[132:133], s[16:17], v[8:9], v[140:141]
	v_add_f64 v[12:13], v[210:211], -v[208:209]
	v_add_f64 v[14:15], v[212:213], -v[216:217]
	v_fmac_f64_e32 v[140:141], s[0:1], v[8:9]
	v_fmac_f64_e32 v[132:133], s[12:13], v[6:7]
	v_add_f64 v[12:13], v[12:13], v[14:15]
	v_fmac_f64_e32 v[140:141], s[18:19], v[6:7]
	v_add_f64 v[18:19], v[214:215], -v[218:219]
	v_add_f64 v[28:29], v[222:223], -v[220:221]
	v_add_f64 v[4:5], v[210:211], v[212:213]
	v_fmac_f64_e32 v[132:133], s[14:15], v[12:13]
	v_fmac_f64_e32 v[140:141], s[14:15], v[12:13]
	v_add_f64 v[12:13], v[218:219], v[220:221]
	v_add_f64 v[18:19], v[18:19], v[28:29]
	;; [unrolled: 1-line block ×3, first 2 shown]
	ds_write_b128 v21, v[164:167]
	ds_write_b128 v21, v[168:171] offset:272
	ds_write_b128 v21, v[172:175] offset:544
	;; [unrolled: 1-line block ×4, first 2 shown]
	v_mul_u32_u24_e32 v21, 0x55, v24
	v_fma_f64 v[4:5], -0.5, v[4:5], v[144:145]
	v_fma_f64 v[12:13], -0.5, v[12:13], v[146:147]
	v_add_f64 v[14:15], v[208:209], -v[216:217]
	v_add_f64 v[16:17], v[210:211], -v[212:213]
	v_fma_f64 v[142:143], -0.5, v[28:29], v[146:147]
	v_add_lshl_u32 v22, v21, v25, 4
	v_fma_f64 v[136:137], s[16:17], v[6:7], v[4:5]
	v_fma_f64 v[138:139], s[0:1], v[14:15], v[12:13]
	;; [unrolled: 1-line block ×3, first 2 shown]
	v_add_f64 v[28:29], v[218:219], -v[214:215]
	v_add_f64 v[30:31], v[220:221], -v[222:223]
	v_fmac_f64_e32 v[142:143], s[16:17], v[16:17]
	ds_write_b128 v22, v[180:183]
	ds_write_b128 v22, v[184:187] offset:272
	ds_write_b128 v22, v[0:3] offset:544
	;; [unrolled: 1-line block ×4, first 2 shown]
	v_mul_u32_u24_e32 v0, 0x55, v26
	v_accvgpr_write_b32 a87, v45
	v_accvgpr_write_b32 a83, v41
	v_fmac_f64_e32 v[136:137], s[18:19], v[8:9]
	v_fmac_f64_e32 v[138:139], s[12:13], v[16:17]
	;; [unrolled: 1-line block ×3, first 2 shown]
	v_add_f64 v[28:29], v[28:29], v[30:31]
	v_fmac_f64_e32 v[142:143], s[12:13], v[14:15]
	v_add_lshl_u32 v0, v0, v27, 4
	v_accvgpr_write_b32 a86, v44
	v_accvgpr_write_b32 a85, v43
	;; [unrolled: 1-line block ×6, first 2 shown]
	v_fmac_f64_e32 v[136:137], s[14:15], v[10:11]
	v_fmac_f64_e32 v[138:139], s[14:15], v[18:19]
	;; [unrolled: 1-line block ×4, first 2 shown]
	v_accvgpr_write_b32 a97, v0
	ds_write_b128 v0, v[224:227]
	ds_write_b128 v0, v[232:235] offset:272
	ds_write_b128 v0, v[236:239] offset:544
	;; [unrolled: 1-line block ×4, first 2 shown]
	s_and_saveexec_b64 s[16:17], vcc
	s_cbranch_execz .LBB0_5
; %bb.4:
	v_mul_f64 v[2:3], v[14:15], s[0:1]
	v_mul_f64 v[0:1], v[6:7], s[0:1]
	;; [unrolled: 1-line block ×3, first 2 shown]
	v_add_f64 v[2:3], v[12:13], -v[2:3]
	v_mul_f64 v[8:9], v[8:9], s[12:13]
	v_add_f64 v[2:3], v[2:3], -v[6:7]
	v_add_f64 v[6:7], v[146:147], v[214:215]
	v_add_f64 v[0:1], v[4:5], v[0:1]
	;; [unrolled: 1-line block ×6, first 2 shown]
	s_movk_i32 s0, 0x55
	v_accvgpr_read_b32 v8, a1
	v_accvgpr_read_b32 v9, a3
	v_add_f64 v[6:7], v[6:7], v[220:221]
	v_add_f64 v[4:5], v[4:5], v[212:213]
	v_mad_legacy_u16 v8, v8, s0, v9
	v_mul_f64 v[10:11], v[10:11], s[14:15]
	v_mul_f64 v[14:15], v[18:19], s[14:15]
	v_add_f64 v[6:7], v[6:7], v[222:223]
	v_add_f64 v[4:5], v[4:5], v[216:217]
	v_lshlrev_b32_e32 v8, 4, v8
	v_add_f64 v[2:3], v[14:15], v[2:3]
	v_add_f64 v[0:1], v[10:11], v[0:1]
	ds_write_b128 v8, v[4:7]
	ds_write_b128 v8, v[0:3] offset:272
	ds_write_b128 v8, v[132:135] offset:544
	;; [unrolled: 1-line block ×4, first 2 shown]
.LBB0_5:
	s_or_b64 exec, exec, s[16:17]
	v_lshlrev_b32_e32 v0, 8, v60
	s_waitcnt lgkmcnt(0)
	s_barrier
	global_load_dwordx4 v[156:159], v0, s[10:11] offset:1088
	global_load_dwordx4 v[152:155], v0, s[10:11] offset:1104
	;; [unrolled: 1-line block ×16, first 2 shown]
	ds_read_b128 v[212:215], v20
	ds_read_b128 v[6:9], v20 offset:1360
	ds_read_b128 v[14:17], v20 offset:2720
	;; [unrolled: 1-line block ×16, first 2 shown]
	v_accvgpr_write_b32 a0, v60
	s_mov_b32 s28, 0x6c9a05f6
	v_mov_b32_e32 v21, 0
	s_mov_b32 s29, 0xbfe9895b
	s_mov_b32 s30, 0x6ed5f1bb
	v_lshl_add_u64 v[4:5], s[8:9], 0, v[20:21]
	s_mov_b32 s24, 0x5d8e7cdc
	s_mov_b32 s18, 0x2a9d6da3
	;; [unrolled: 1-line block ×43, first 2 shown]
	s_movk_i32 s0, 0x5000
	s_waitcnt vmcnt(15) lgkmcnt(14)
	v_mul_f64 v[254:255], v[6:7], v[158:159]
	v_mul_f64 v[58:59], v[8:9], v[158:159]
	s_waitcnt vmcnt(14)
	v_mul_f64 v[246:247], v[14:15], v[154:155]
	s_waitcnt vmcnt(12) lgkmcnt(12)
	v_mul_f64 v[230:231], v[218:219], v[146:147]
	v_fmac_f64_e32 v[254:255], v[8:9], v[156:157]
	v_mul_f64 v[228:229], v[16:17], v[154:155]
	v_mul_f64 v[238:239], v[208:209], v[150:151]
	;; [unrolled: 1-line block ×3, first 2 shown]
	v_fma_f64 v[58:59], v[6:7], v[156:157], -v[58:59]
	s_waitcnt vmcnt(6) lgkmcnt(6)
	v_mul_f64 v[12:13], v[30:31], v[186:187]
	s_waitcnt vmcnt(5) lgkmcnt(5)
	v_mul_f64 v[72:73], v[36:37], v[182:183]
	v_mul_f64 v[216:217], v[34:35], v[182:183]
	v_fmac_f64_e32 v[246:247], v[16:17], v[152:153]
	v_fmac_f64_e32 v[230:231], v[220:221], v[144:145]
	v_fma_f64 v[220:221], v[34:35], v[180:181], -v[72:73]
	v_add_f64 v[34:35], v[214:215], v[254:255]
	v_mul_f64 v[232:233], v[210:211], v[150:151]
	v_mul_f64 v[70:71], v[32:33], v[186:187]
	v_fma_f64 v[248:249], v[14:15], v[152:153], -v[228:229]
	v_fmac_f64_e32 v[238:239], v[210:211], v[148:149]
	v_fmac_f64_e32 v[12:13], v[32:33], v[184:185]
	v_add_f64 v[32:33], v[212:213], v[58:59]
	v_add_f64 v[34:35], v[34:35], v[246:247]
	v_mul_f64 v[222:223], v[224:225], v[174:175]
	v_fma_f64 v[240:241], v[208:209], v[148:149], -v[232:233]
	v_add_f64 v[32:33], v[32:33], v[248:249]
	v_add_f64 v[34:35], v[34:35], v[238:239]
	v_mul_f64 v[62:63], v[226:227], v[174:175]
	v_mul_f64 v[18:19], v[234:235], v[170:171]
	v_fma_f64 v[232:233], v[218:219], v[144:145], -v[60:61]
	v_fmac_f64_e32 v[222:223], v[226:227], v[172:173]
	v_add_f64 v[32:33], v[32:33], v[240:241]
	v_add_f64 v[34:35], v[34:35], v[230:231]
	v_mul_f64 v[64:65], v[236:237], v[170:171]
	v_mul_f64 v[10:11], v[242:243], v[166:167]
	v_fma_f64 v[224:225], v[224:225], v[172:173], -v[62:63]
	v_fmac_f64_e32 v[18:19], v[236:237], v[168:169]
	;; [unrolled: 6-line block ×4, first 2 shown]
	v_add_f64 v[32:33], v[32:33], v[218:219]
	v_add_f64 v[34:35], v[34:35], v[10:11]
	v_mul_f64 v[68:69], v[28:29], v[190:191]
	v_fma_f64 v[6:7], v[250:251], v[160:161], -v[24:25]
	v_fmac_f64_e32 v[2:3], v[28:29], v[188:189]
	v_add_f64 v[32:33], v[32:33], v[14:15]
	v_add_f64 v[34:35], v[34:35], v[0:1]
	v_fma_f64 v[8:9], v[26:27], v[188:189], -v[68:69]
	v_add_f64 v[32:33], v[32:33], v[6:7]
	v_add_f64 v[34:35], v[34:35], v[2:3]
	v_fma_f64 v[16:17], v[30:31], v[184:185], -v[70:71]
	v_fmac_f64_e32 v[216:217], v[36:37], v[180:181]
	s_waitcnt vmcnt(4) lgkmcnt(4)
	v_mul_f64 v[228:229], v[38:39], v[178:179]
	v_add_f64 v[32:33], v[32:33], v[8:9]
	v_add_f64 v[34:35], v[34:35], v[12:13]
	v_mul_f64 v[24:25], v[40:41], v[178:179]
	v_fmac_f64_e32 v[228:229], v[40:41], v[176:177]
	s_waitcnt vmcnt(3) lgkmcnt(3)
	v_mul_f64 v[236:237], v[42:43], v[206:207]
	v_add_f64 v[32:33], v[32:33], v[16:17]
	v_add_f64 v[34:35], v[34:35], v[216:217]
	v_fma_f64 v[226:227], v[38:39], v[176:177], -v[24:25]
	v_mul_f64 v[24:25], v[44:45], v[206:207]
	v_fmac_f64_e32 v[236:237], v[44:45], v[204:205]
	s_waitcnt vmcnt(2) lgkmcnt(2)
	v_mul_f64 v[244:245], v[46:47], v[202:203]
	v_add_f64 v[32:33], v[32:33], v[220:221]
	v_add_f64 v[34:35], v[34:35], v[228:229]
	v_fma_f64 v[234:235], v[42:43], v[204:205], -v[24:25]
	;; [unrolled: 7-line block ×4, first 2 shown]
	v_mul_f64 v[28:29], v[56:57], v[194:195]
	v_fmac_f64_e32 v[30:31], v[56:57], v[192:193]
	v_add_f64 v[32:33], v[32:33], v[242:243]
	v_add_f64 v[34:35], v[34:35], v[26:27]
	v_fma_f64 v[28:29], v[54:55], v[192:193], -v[28:29]
	v_add_f64 v[32:33], v[32:33], v[24:25]
	v_add_f64 v[210:211], v[34:35], v[30:31]
	;; [unrolled: 1-line block ×3, first 2 shown]
	v_add_f64 v[30:31], v[254:255], -v[30:31]
	v_add_f64 v[208:209], v[32:33], v[28:29]
	v_add_f64 v[32:33], v[58:59], v[28:29]
	v_add_f64 v[28:29], v[58:59], -v[28:29]
	v_mul_f64 v[250:251], v[30:31], s[28:29]
	v_fma_f64 v[252:253], v[32:33], s[30:31], -v[250:251]
	v_mul_f64 v[254:255], v[28:29], s[28:29]
	v_fmac_f64_e32 v[250:251], s[30:31], v[32:33]
	v_mul_f64 v[40:41], v[28:29], s[24:25]
	v_mul_f64 v[48:49], v[28:29], s[18:19]
	;; [unrolled: 1-line block ×5, first 2 shown]
	v_fma_f64 v[76:77], s[30:31], v[34:35], v[254:255]
	v_add_f64 v[78:79], v[212:213], v[250:251]
	v_fma_f64 v[250:251], v[34:35], s[30:31], -v[254:255]
	v_mul_f64 v[254:255], v[30:31], s[34:35]
	v_mul_f64 v[82:83], v[28:29], s[34:35]
	;; [unrolled: 1-line block ×4, first 2 shown]
	v_fma_f64 v[42:43], s[26:27], v[34:35], v[40:41]
	v_fma_f64 v[40:41], v[34:35], s[26:27], -v[40:41]
	v_mul_f64 v[44:45], v[30:31], s[18:19]
	v_fma_f64 v[50:51], s[20:21], v[34:35], v[48:49]
	v_fma_f64 v[48:49], v[34:35], s[20:21], -v[48:49]
	v_mul_f64 v[52:53], v[30:31], s[12:13]
	;; [unrolled: 3-line block ×4, first 2 shown]
	v_fma_f64 v[74:75], s[22:23], v[34:35], v[72:73]
	v_fma_f64 v[72:73], v[34:35], s[22:23], -v[72:73]
	v_fma_f64 v[80:81], v[32:33], s[36:37], -v[254:255]
	v_fma_f64 v[84:85], s[36:37], v[34:35], v[82:83]
	v_fmac_f64_e32 v[254:255], s[36:37], v[32:33]
	v_fma_f64 v[82:83], v[34:35], s[36:37], -v[82:83]
	v_mul_f64 v[30:31], v[30:31], s[40:41]
	v_fma_f64 v[88:89], s[44:45], v[34:35], v[28:29]
	v_fma_f64 v[28:29], v[34:35], s[44:45], -v[28:29]
	v_add_f64 v[34:35], v[246:247], v[26:27]
	v_add_f64 v[26:27], v[246:247], -v[26:27]
	v_fma_f64 v[38:39], v[32:33], s[26:27], -v[36:37]
	v_fmac_f64_e32 v[36:37], s[26:27], v[32:33]
	v_fma_f64 v[46:47], v[32:33], s[20:21], -v[44:45]
	v_fmac_f64_e32 v[44:45], s[20:21], v[32:33]
	;; [unrolled: 2-line block ×5, first 2 shown]
	v_add_f64 v[86:87], v[212:213], v[254:255]
	v_fma_f64 v[254:255], v[32:33], s[44:45], -v[30:31]
	v_fmac_f64_e32 v[30:31], s[44:45], v[32:33]
	v_add_f64 v[32:33], v[248:249], v[24:25]
	v_mul_f64 v[90:91], v[26:27], s[18:19]
	v_add_f64 v[38:39], v[212:213], v[38:39]
	v_add_f64 v[36:37], v[212:213], v[36:37]
	;; [unrolled: 1-line block ×14, first 2 shown]
	v_add_f64 v[24:25], v[248:249], -v[24:25]
	v_fma_f64 v[212:213], v[32:33], s[20:21], -v[90:91]
	v_add_f64 v[38:39], v[212:213], v[38:39]
	v_mul_f64 v[212:213], v[24:25], s[18:19]
	v_fmac_f64_e32 v[90:91], s[20:21], v[32:33]
	v_add_f64 v[40:41], v[214:215], v[40:41]
	v_add_f64 v[36:37], v[90:91], v[36:37]
	v_fma_f64 v[90:91], v[34:35], s[20:21], -v[212:213]
	v_add_f64 v[40:41], v[90:91], v[40:41]
	v_mul_f64 v[90:91], v[26:27], s[8:9]
	v_add_f64 v[42:43], v[214:215], v[42:43]
	v_add_f64 v[50:51], v[214:215], v[50:51]
	;; [unrolled: 1-line block ×15, first 2 shown]
	v_fma_f64 v[214:215], s[20:21], v[34:35], v[212:213]
	v_fma_f64 v[212:213], v[32:33], s[10:11], -v[90:91]
	v_add_f64 v[46:47], v[212:213], v[46:47]
	v_mul_f64 v[212:213], v[24:25], s[8:9]
	v_fmac_f64_e32 v[90:91], s[10:11], v[32:33]
	v_add_f64 v[44:45], v[90:91], v[44:45]
	v_fma_f64 v[90:91], v[34:35], s[10:11], -v[212:213]
	v_add_f64 v[48:49], v[90:91], v[48:49]
	v_mul_f64 v[90:91], v[26:27], s[28:29]
	v_add_f64 v[42:43], v[214:215], v[42:43]
	v_fma_f64 v[214:215], s[10:11], v[34:35], v[212:213]
	v_fma_f64 v[212:213], v[32:33], s[30:31], -v[90:91]
	v_add_f64 v[54:55], v[212:213], v[54:55]
	v_mul_f64 v[212:213], v[24:25], s[28:29]
	v_fmac_f64_e32 v[90:91], s[30:31], v[32:33]
	v_add_f64 v[52:53], v[90:91], v[52:53]
	v_fma_f64 v[90:91], v[34:35], s[30:31], -v[212:213]
	v_add_f64 v[56:57], v[90:91], v[56:57]
	v_mul_f64 v[90:91], v[26:27], s[40:41]
	v_add_f64 v[50:51], v[214:215], v[50:51]
	;; [unrolled: 10-line block ×3, first 2 shown]
	v_fma_f64 v[214:215], s[44:45], v[34:35], v[212:213]
	v_fma_f64 v[212:213], v[32:33], s[36:37], -v[90:91]
	v_add_f64 v[70:71], v[212:213], v[70:71]
	v_mul_f64 v[212:213], v[24:25], s[46:47]
	v_fmac_f64_e32 v[90:91], s[36:37], v[32:33]
	v_add_f64 v[68:69], v[90:91], v[68:69]
	v_fma_f64 v[90:91], v[34:35], s[36:37], -v[212:213]
	v_add_f64 v[66:67], v[214:215], v[66:67]
	v_fma_f64 v[214:215], s[36:37], v[34:35], v[212:213]
	v_add_f64 v[72:73], v[90:91], v[72:73]
	v_mul_f64 v[90:91], v[26:27], s[38:39]
	v_add_f64 v[74:75], v[214:215], v[74:75]
	v_fma_f64 v[212:213], v[32:33], s[22:23], -v[90:91]
	v_mul_f64 v[214:215], v[24:25], s[38:39]
	v_fmac_f64_e32 v[90:91], s[22:23], v[32:33]
	v_fma_f64 v[246:247], s[22:23], v[34:35], v[214:215]
	v_add_f64 v[78:79], v[90:91], v[78:79]
	v_fma_f64 v[90:91], v[34:35], s[22:23], -v[214:215]
	v_mul_f64 v[214:215], v[26:27], s[42:43]
	v_add_f64 v[76:77], v[246:247], v[76:77]
	v_fma_f64 v[246:247], v[32:33], s[14:15], -v[214:215]
	v_add_f64 v[80:81], v[246:247], v[80:81]
	v_mul_f64 v[246:247], v[24:25], s[42:43]
	v_fmac_f64_e32 v[214:215], s[14:15], v[32:33]
	v_add_f64 v[86:87], v[214:215], v[86:87]
	v_fma_f64 v[214:215], v[34:35], s[14:15], -v[246:247]
	v_mul_f64 v[26:27], v[26:27], s[48:49]
	v_mul_f64 v[24:25], v[24:25], s[48:49]
	v_fma_f64 v[248:249], s[14:15], v[34:35], v[246:247]
	v_add_f64 v[82:83], v[214:215], v[82:83]
	v_fma_f64 v[214:215], v[32:33], s[26:27], -v[26:27]
	v_fma_f64 v[246:247], s[26:27], v[34:35], v[24:25]
	v_fmac_f64_e32 v[26:27], s[26:27], v[32:33]
	v_fma_f64 v[24:25], v[34:35], s[26:27], -v[24:25]
	v_add_f64 v[34:35], v[238:239], -v[244:245]
	v_add_f64 v[26:27], v[26:27], v[30:31]
	v_add_f64 v[24:25], v[24:25], v[28:29]
	;; [unrolled: 1-line block ×4, first 2 shown]
	v_mul_f64 v[238:239], v[34:35], s[12:13]
	v_add_f64 v[32:33], v[240:241], -v[242:243]
	v_fma_f64 v[240:241], v[28:29], s[14:15], -v[238:239]
	v_add_f64 v[38:39], v[240:241], v[38:39]
	v_mul_f64 v[240:241], v[32:33], s[12:13]
	v_fmac_f64_e32 v[238:239], s[14:15], v[28:29]
	v_add_f64 v[36:37], v[238:239], v[36:37]
	v_fma_f64 v[238:239], v[30:31], s[14:15], -v[240:241]
	v_add_f64 v[40:41], v[238:239], v[40:41]
	v_mul_f64 v[238:239], v[34:35], s[28:29]
	v_fma_f64 v[242:243], s[14:15], v[30:31], v[240:241]
	v_fma_f64 v[240:241], v[28:29], s[30:31], -v[238:239]
	v_add_f64 v[46:47], v[240:241], v[46:47]
	v_mul_f64 v[240:241], v[32:33], s[28:29]
	v_fmac_f64_e32 v[238:239], s[30:31], v[28:29]
	v_add_f64 v[44:45], v[238:239], v[44:45]
	v_fma_f64 v[238:239], v[30:31], s[30:31], -v[240:241]
	v_add_f64 v[48:49], v[238:239], v[48:49]
	v_mul_f64 v[238:239], v[34:35], s[52:53]
	v_add_f64 v[42:43], v[242:243], v[42:43]
	v_fma_f64 v[242:243], s[30:31], v[30:31], v[240:241]
	v_fma_f64 v[240:241], v[28:29], s[44:45], -v[238:239]
	v_add_f64 v[54:55], v[240:241], v[54:55]
	v_mul_f64 v[240:241], v[32:33], s[52:53]
	v_fmac_f64_e32 v[238:239], s[44:45], v[28:29]
	v_add_f64 v[52:53], v[238:239], v[52:53]
	v_fma_f64 v[238:239], v[30:31], s[44:45], -v[240:241]
	v_add_f64 v[56:57], v[238:239], v[56:57]
	v_mul_f64 v[238:239], v[34:35], s[38:39]
	v_add_f64 v[50:51], v[242:243], v[50:51]
	;; [unrolled: 10-line block ×4, first 2 shown]
	v_add_f64 v[66:67], v[242:243], v[66:67]
	v_fma_f64 v[242:243], s[20:21], v[30:31], v[240:241]
	v_fma_f64 v[240:241], v[28:29], s[26:27], -v[238:239]
	v_add_f64 v[212:213], v[240:241], v[212:213]
	v_mul_f64 v[240:241], v[32:33], s[24:25]
	v_fmac_f64_e32 v[238:239], s[26:27], v[28:29]
	v_add_f64 v[90:91], v[90:91], v[250:251]
	v_add_f64 v[78:79], v[238:239], v[78:79]
	v_fma_f64 v[238:239], v[30:31], s[26:27], -v[240:241]
	v_add_f64 v[90:91], v[238:239], v[90:91]
	v_mul_f64 v[238:239], v[34:35], s[8:9]
	v_add_f64 v[74:75], v[242:243], v[74:75]
	v_fma_f64 v[242:243], s[26:27], v[30:31], v[240:241]
	v_fma_f64 v[240:241], v[28:29], s[10:11], -v[238:239]
	v_add_f64 v[80:81], v[240:241], v[80:81]
	v_mul_f64 v[240:241], v[32:33], s[8:9]
	v_fmac_f64_e32 v[238:239], s[10:11], v[28:29]
	v_add_f64 v[86:87], v[238:239], v[86:87]
	v_fma_f64 v[238:239], v[30:31], s[10:11], -v[240:241]
	v_mul_f64 v[34:35], v[34:35], s[34:35]
	v_add_f64 v[82:83], v[238:239], v[82:83]
	v_fma_f64 v[238:239], v[28:29], s[36:37], -v[34:35]
	v_mul_f64 v[32:33], v[32:33], s[34:35]
	v_fmac_f64_e32 v[34:35], s[36:37], v[28:29]
	v_add_f64 v[214:215], v[214:215], v[254:255]
	v_add_f64 v[26:27], v[34:35], v[26:27]
	v_fma_f64 v[28:29], v[30:31], s[36:37], -v[32:33]
	v_add_f64 v[34:35], v[230:231], -v[236:237]
	v_add_f64 v[76:77], v[242:243], v[76:77]
	v_fma_f64 v[242:243], s[10:11], v[30:31], v[240:241]
	v_add_f64 v[214:215], v[238:239], v[214:215]
	v_fma_f64 v[238:239], s[36:37], v[30:31], v[32:33]
	v_add_f64 v[24:25], v[28:29], v[24:25]
	v_add_f64 v[28:29], v[232:233], v[234:235]
	;; [unrolled: 1-line block ×3, first 2 shown]
	v_mul_f64 v[230:231], v[34:35], s[8:9]
	v_add_f64 v[32:33], v[232:233], -v[234:235]
	v_fma_f64 v[232:233], v[28:29], s[10:11], -v[230:231]
	v_add_f64 v[38:39], v[232:233], v[38:39]
	v_mul_f64 v[232:233], v[32:33], s[8:9]
	v_fmac_f64_e32 v[230:231], s[10:11], v[28:29]
	v_add_f64 v[36:37], v[230:231], v[36:37]
	v_fma_f64 v[230:231], v[30:31], s[10:11], -v[232:233]
	v_add_f64 v[40:41], v[230:231], v[40:41]
	v_mul_f64 v[230:231], v[34:35], s[40:41]
	v_fma_f64 v[234:235], s[10:11], v[30:31], v[232:233]
	v_fma_f64 v[232:233], v[28:29], s[44:45], -v[230:231]
	v_add_f64 v[46:47], v[232:233], v[46:47]
	v_mul_f64 v[232:233], v[32:33], s[40:41]
	v_fmac_f64_e32 v[230:231], s[44:45], v[28:29]
	v_add_f64 v[44:45], v[230:231], v[44:45]
	v_fma_f64 v[230:231], v[30:31], s[44:45], -v[232:233]
	v_add_f64 v[48:49], v[230:231], v[48:49]
	v_mul_f64 v[230:231], v[34:35], s[38:39]
	v_add_f64 v[42:43], v[234:235], v[42:43]
	v_fma_f64 v[234:235], s[44:45], v[30:31], v[232:233]
	v_fma_f64 v[232:233], v[28:29], s[22:23], -v[230:231]
	v_add_f64 v[54:55], v[232:233], v[54:55]
	v_mul_f64 v[232:233], v[32:33], s[38:39]
	v_fmac_f64_e32 v[230:231], s[22:23], v[28:29]
	v_add_f64 v[52:53], v[230:231], v[52:53]
	v_fma_f64 v[230:231], v[30:31], s[22:23], -v[232:233]
	v_add_f64 v[56:57], v[230:231], v[56:57]
	v_mul_f64 v[230:231], v[34:35], s[48:49]
	v_add_f64 v[50:51], v[234:235], v[50:51]
	;; [unrolled: 10-line block ×5, first 2 shown]
	v_fma_f64 v[234:235], s[36:37], v[30:31], v[232:233]
	v_fma_f64 v[232:233], v[28:29], s[30:31], -v[230:231]
	v_add_f64 v[80:81], v[232:233], v[80:81]
	v_mul_f64 v[232:233], v[32:33], s[54:55]
	v_fmac_f64_e32 v[230:231], s[30:31], v[28:29]
	v_add_f64 v[86:87], v[230:231], v[86:87]
	v_fma_f64 v[230:231], v[30:31], s[30:31], -v[232:233]
	v_mul_f64 v[34:35], v[34:35], s[50:51]
	v_add_f64 v[82:83], v[230:231], v[82:83]
	v_fma_f64 v[230:231], v[28:29], s[20:21], -v[34:35]
	v_mul_f64 v[32:33], v[32:33], s[50:51]
	v_fmac_f64_e32 v[34:35], s[20:21], v[28:29]
	v_add_f64 v[26:27], v[34:35], v[26:27]
	v_fma_f64 v[28:29], v[30:31], s[20:21], -v[32:33]
	v_add_f64 v[34:35], v[222:223], -v[228:229]
	v_add_f64 v[76:77], v[234:235], v[76:77]
	v_fma_f64 v[234:235], s[30:31], v[30:31], v[232:233]
	v_add_f64 v[214:215], v[230:231], v[214:215]
	v_fma_f64 v[230:231], s[20:21], v[30:31], v[32:33]
	v_add_f64 v[24:25], v[28:29], v[24:25]
	v_add_f64 v[28:29], v[224:225], v[226:227]
	;; [unrolled: 1-line block ×3, first 2 shown]
	v_mul_f64 v[222:223], v[34:35], s[16:17]
	v_add_f64 v[32:33], v[224:225], -v[226:227]
	v_fma_f64 v[224:225], v[28:29], s[22:23], -v[222:223]
	v_add_f64 v[38:39], v[224:225], v[38:39]
	v_mul_f64 v[224:225], v[32:33], s[16:17]
	v_fmac_f64_e32 v[222:223], s[22:23], v[28:29]
	v_add_f64 v[36:37], v[222:223], v[36:37]
	v_fma_f64 v[222:223], v[30:31], s[22:23], -v[224:225]
	v_add_f64 v[40:41], v[222:223], v[40:41]
	v_mul_f64 v[222:223], v[34:35], s[46:47]
	v_fma_f64 v[226:227], s[22:23], v[30:31], v[224:225]
	v_fma_f64 v[224:225], v[28:29], s[36:37], -v[222:223]
	v_add_f64 v[46:47], v[224:225], v[46:47]
	v_mul_f64 v[224:225], v[32:33], s[46:47]
	v_fmac_f64_e32 v[222:223], s[36:37], v[28:29]
	v_add_f64 v[44:45], v[222:223], v[44:45]
	v_fma_f64 v[222:223], v[30:31], s[36:37], -v[224:225]
	v_add_f64 v[48:49], v[222:223], v[48:49]
	v_mul_f64 v[222:223], v[34:35], s[50:51]
	v_add_f64 v[42:43], v[226:227], v[42:43]
	v_fma_f64 v[226:227], s[36:37], v[30:31], v[224:225]
	v_fma_f64 v[224:225], v[28:29], s[20:21], -v[222:223]
	v_add_f64 v[54:55], v[224:225], v[54:55]
	v_mul_f64 v[224:225], v[32:33], s[50:51]
	v_fmac_f64_e32 v[222:223], s[20:21], v[28:29]
	v_add_f64 v[52:53], v[222:223], v[52:53]
	v_fma_f64 v[222:223], v[30:31], s[20:21], -v[224:225]
	v_add_f64 v[56:57], v[222:223], v[56:57]
	v_mul_f64 v[222:223], v[34:35], s[12:13]
	v_add_f64 v[50:51], v[226:227], v[50:51]
	v_fma_f64 v[226:227], s[20:21], v[30:31], v[224:225]
	v_fma_f64 v[224:225], v[28:29], s[14:15], -v[222:223]
	v_add_f64 v[62:63], v[224:225], v[62:63]
	v_mul_f64 v[224:225], v[32:33], s[12:13]
	v_fmac_f64_e32 v[222:223], s[14:15], v[28:29]
	v_add_f64 v[60:61], v[222:223], v[60:61]
	v_fma_f64 v[222:223], v[30:31], s[14:15], -v[224:225]
	v_add_f64 v[64:65], v[222:223], v[64:65]
	v_mul_f64 v[222:223], v[34:35], s[40:41]
	v_add_f64 v[58:59], v[226:227], v[58:59]
	v_fma_f64 v[226:227], s[14:15], v[30:31], v[224:225]
	v_fma_f64 v[224:225], v[28:29], s[44:45], -v[222:223]
	v_add_f64 v[70:71], v[224:225], v[70:71]
	v_mul_f64 v[224:225], v[32:33], s[40:41]
	v_fmac_f64_e32 v[222:223], s[44:45], v[28:29]
	v_add_f64 v[68:69], v[222:223], v[68:69]
	v_fma_f64 v[222:223], v[30:31], s[44:45], -v[224:225]
	v_add_f64 v[72:73], v[222:223], v[72:73]
	v_mul_f64 v[222:223], v[34:35], s[56:57]
	v_add_f64 v[66:67], v[226:227], v[66:67]
	v_fma_f64 v[226:227], s[44:45], v[30:31], v[224:225]
	v_fma_f64 v[224:225], v[28:29], s[10:11], -v[222:223]
	v_add_f64 v[212:213], v[224:225], v[212:213]
	v_mul_f64 v[224:225], v[32:33], s[56:57]
	v_fmac_f64_e32 v[222:223], s[10:11], v[28:29]
	v_add_f64 v[78:79], v[222:223], v[78:79]
	v_fma_f64 v[222:223], v[30:31], s[10:11], -v[224:225]
	v_add_f64 v[90:91], v[222:223], v[90:91]
	v_mul_f64 v[222:223], v[34:35], s[24:25]
	v_add_f64 v[74:75], v[226:227], v[74:75]
	v_fma_f64 v[226:227], s[10:11], v[30:31], v[224:225]
	v_fma_f64 v[224:225], v[28:29], s[26:27], -v[222:223]
	v_add_f64 v[80:81], v[224:225], v[80:81]
	v_mul_f64 v[224:225], v[32:33], s[24:25]
	v_fmac_f64_e32 v[222:223], s[26:27], v[28:29]
	v_add_f64 v[86:87], v[222:223], v[86:87]
	v_fma_f64 v[222:223], v[30:31], s[26:27], -v[224:225]
	v_mul_f64 v[34:35], v[34:35], s[28:29]
	v_add_f64 v[82:83], v[222:223], v[82:83]
	v_fma_f64 v[222:223], v[28:29], s[30:31], -v[34:35]
	v_mul_f64 v[32:33], v[32:33], s[28:29]
	v_add_f64 v[76:77], v[226:227], v[76:77]
	v_fma_f64 v[226:227], s[26:27], v[30:31], v[224:225]
	v_add_f64 v[214:215], v[222:223], v[214:215]
	v_fma_f64 v[222:223], s[30:31], v[30:31], v[32:33]
	v_fmac_f64_e32 v[34:35], s[30:31], v[28:29]
	v_fma_f64 v[28:29], v[30:31], s[30:31], -v[32:33]
	v_add_f64 v[30:31], v[18:19], v[216:217]
	v_add_f64 v[18:19], v[18:19], -v[216:217]
	v_add_f64 v[26:27], v[34:35], v[26:27]
	v_add_f64 v[24:25], v[28:29], v[24:25]
	;; [unrolled: 1-line block ×3, first 2 shown]
	v_mul_f64 v[34:35], v[18:19], s[28:29]
	v_add_f64 v[32:33], v[218:219], -v[220:221]
	v_fma_f64 v[216:217], v[28:29], s[30:31], -v[34:35]
	v_add_f64 v[38:39], v[216:217], v[38:39]
	v_mul_f64 v[216:217], v[32:33], s[28:29]
	v_fmac_f64_e32 v[34:35], s[30:31], v[28:29]
	v_add_f64 v[34:35], v[34:35], v[36:37]
	v_fma_f64 v[36:37], v[30:31], s[30:31], -v[216:217]
	v_add_f64 v[36:37], v[36:37], v[40:41]
	v_mul_f64 v[40:41], v[18:19], s[38:39]
	v_fma_f64 v[218:219], s[30:31], v[30:31], v[216:217]
	v_fma_f64 v[216:217], v[28:29], s[22:23], -v[40:41]
	v_add_f64 v[46:47], v[216:217], v[46:47]
	v_mul_f64 v[216:217], v[32:33], s[38:39]
	v_fmac_f64_e32 v[40:41], s[22:23], v[28:29]
	v_add_f64 v[40:41], v[40:41], v[44:45]
	v_fma_f64 v[44:45], v[30:31], s[22:23], -v[216:217]
	v_add_f64 v[44:45], v[44:45], v[48:49]
	v_mul_f64 v[48:49], v[18:19], s[24:25]
	v_add_f64 v[42:43], v[218:219], v[42:43]
	v_fma_f64 v[218:219], s[22:23], v[30:31], v[216:217]
	v_fma_f64 v[216:217], v[28:29], s[26:27], -v[48:49]
	v_add_f64 v[54:55], v[216:217], v[54:55]
	v_mul_f64 v[216:217], v[32:33], s[24:25]
	v_fmac_f64_e32 v[48:49], s[26:27], v[28:29]
	v_add_f64 v[48:49], v[48:49], v[52:53]
	v_fma_f64 v[52:53], v[30:31], s[26:27], -v[216:217]
	v_add_f64 v[52:53], v[52:53], v[56:57]
	v_mul_f64 v[56:57], v[18:19], s[34:35]
	v_add_f64 v[50:51], v[218:219], v[50:51]
	;; [unrolled: 10-line block ×5, first 2 shown]
	v_fma_f64 v[218:219], s[20:21], v[30:31], v[216:217]
	v_fma_f64 v[216:217], v[28:29], s[44:45], -v[90:91]
	v_add_f64 v[80:81], v[216:217], v[80:81]
	v_mul_f64 v[216:217], v[32:33], s[40:41]
	v_fmac_f64_e32 v[90:91], s[44:45], v[28:29]
	v_add_f64 v[86:87], v[90:91], v[86:87]
	v_fma_f64 v[90:91], v[30:31], s[44:45], -v[216:217]
	v_mul_f64 v[18:19], v[18:19], s[42:43]
	v_add_f64 v[82:83], v[90:91], v[82:83]
	v_fma_f64 v[90:91], v[28:29], s[14:15], -v[18:19]
	v_mul_f64 v[32:33], v[32:33], s[42:43]
	v_fmac_f64_e32 v[18:19], s[14:15], v[28:29]
	v_add_f64 v[18:19], v[18:19], v[26:27]
	v_fma_f64 v[26:27], v[30:31], s[14:15], -v[32:33]
	v_add_f64 v[28:29], v[10:11], v[12:13]
	v_add_f64 v[10:11], v[10:11], -v[12:13]
	v_add_f64 v[24:25], v[26:27], v[24:25]
	v_add_f64 v[26:27], v[14:15], v[16:17]
	v_add_f64 v[14:15], v[14:15], -v[16:17]
	v_mul_f64 v[12:13], v[10:11], s[34:35]
	v_add_f64 v[76:77], v[218:219], v[76:77]
	v_fma_f64 v[218:219], s[44:45], v[30:31], v[216:217]
	v_add_f64 v[90:91], v[90:91], v[214:215]
	v_fma_f64 v[214:215], s[14:15], v[30:31], v[32:33]
	v_fma_f64 v[16:17], v[26:27], s[36:37], -v[12:13]
	v_mul_f64 v[30:31], v[14:15], s[34:35]
	v_fmac_f64_e32 v[12:13], s[36:37], v[26:27]
	v_fma_f64 v[32:33], s[36:37], v[28:29], v[30:31]
	v_add_f64 v[12:13], v[12:13], v[34:35]
	v_fma_f64 v[30:31], v[28:29], s[36:37], -v[30:31]
	v_mul_f64 v[34:35], v[10:11], s[42:43]
	v_add_f64 v[16:17], v[16:17], v[38:39]
	v_add_f64 v[30:31], v[30:31], v[36:37]
	v_fma_f64 v[36:37], v[26:27], s[14:15], -v[34:35]
	v_mul_f64 v[38:39], v[14:15], s[42:43]
	v_fmac_f64_e32 v[34:35], s[14:15], v[26:27]
	v_add_f64 v[32:33], v[32:33], v[42:43]
	v_fma_f64 v[42:43], s[14:15], v[28:29], v[38:39]
	v_add_f64 v[34:35], v[34:35], v[40:41]
	v_fma_f64 v[38:39], v[28:29], s[14:15], -v[38:39]
	v_mul_f64 v[40:41], v[10:11], s[8:9]
	v_add_f64 v[36:37], v[36:37], v[46:47]
	v_add_f64 v[38:39], v[38:39], v[44:45]
	v_fma_f64 v[44:45], v[26:27], s[10:11], -v[40:41]
	v_mul_f64 v[46:47], v[14:15], s[8:9]
	v_fmac_f64_e32 v[40:41], s[10:11], v[26:27]
	v_add_f64 v[42:43], v[42:43], v[50:51]
	;; [unrolled: 10-line block ×4, first 2 shown]
	v_fma_f64 v[66:67], s[26:27], v[28:29], v[62:63]
	v_add_f64 v[56:57], v[56:57], v[64:65]
	v_fma_f64 v[62:63], v[28:29], s[26:27], -v[62:63]
	v_mul_f64 v[64:65], v[10:11], s[40:41]
	v_add_f64 v[84:85], v[248:249], v[84:85]
	v_add_f64 v[60:61], v[60:61], v[70:71]
	;; [unrolled: 1-line block ×3, first 2 shown]
	v_fma_f64 v[68:69], v[26:27], s[44:45], -v[64:65]
	v_mul_f64 v[70:71], v[14:15], s[40:41]
	v_fmac_f64_e32 v[64:65], s[44:45], v[26:27]
	v_add_f64 v[88:89], v[246:247], v[88:89]
	v_add_f64 v[84:85], v[242:243], v[84:85]
	;; [unrolled: 1-line block ×3, first 2 shown]
	v_fma_f64 v[74:75], s[44:45], v[28:29], v[70:71]
	v_add_f64 v[64:65], v[64:65], v[72:73]
	v_fma_f64 v[70:71], v[28:29], s[44:45], -v[70:71]
	v_mul_f64 v[72:73], v[10:11], s[50:51]
	v_add_f64 v[88:89], v[238:239], v[88:89]
	v_add_f64 v[84:85], v[234:235], v[84:85]
	;; [unrolled: 1-line block ×4, first 2 shown]
	v_fma_f64 v[76:77], v[26:27], s[20:21], -v[72:73]
	v_mul_f64 v[78:79], v[14:15], s[50:51]
	v_add_f64 v[88:89], v[230:231], v[88:89]
	v_add_f64 v[84:85], v[226:227], v[84:85]
	;; [unrolled: 1-line block ×3, first 2 shown]
	v_fma_f64 v[80:81], s[20:21], v[28:29], v[78:79]
	v_fma_f64 v[78:79], v[28:29], s[20:21], -v[78:79]
	v_mul_f64 v[10:11], v[10:11], s[16:17]
	v_add_f64 v[88:89], v[222:223], v[88:89]
	v_add_f64 v[84:85], v[218:219], v[84:85]
	;; [unrolled: 1-line block ×3, first 2 shown]
	v_fma_f64 v[82:83], v[26:27], s[22:23], -v[10:11]
	v_mul_f64 v[14:15], v[14:15], s[16:17]
	v_add_f64 v[88:89], v[214:215], v[88:89]
	v_add_f64 v[80:81], v[80:81], v[84:85]
	v_fmac_f64_e32 v[72:73], s[20:21], v[26:27]
	v_add_f64 v[82:83], v[82:83], v[90:91]
	v_fma_f64 v[84:85], s[22:23], v[28:29], v[14:15]
	v_add_f64 v[90:91], v[6:7], -v[8:9]
	v_add_f64 v[72:73], v[72:73], v[86:87]
	v_add_f64 v[84:85], v[84:85], v[88:89]
	;; [unrolled: 1-line block ×4, first 2 shown]
	v_mul_f64 v[8:9], v[90:91], s[40:41]
	v_add_f64 v[220:221], v[0:1], -v[2:3]
	v_fma_f64 v[2:3], s[44:45], v[88:89], v[8:9]
	v_fma_f64 v[8:9], v[88:89], s[44:45], -v[8:9]
	v_fmac_f64_e32 v[10:11], s[22:23], v[26:27]
	v_mul_f64 v[6:7], v[220:221], s[40:41]
	v_add_f64 v[8:9], v[8:9], v[30:31]
	v_mul_f64 v[30:31], v[220:221], s[34:35]
	v_add_f64 v[18:19], v[10:11], v[18:19]
	v_fma_f64 v[10:11], v[28:29], s[22:23], -v[14:15]
	v_fma_f64 v[0:1], v[86:87], s[44:45], -v[6:7]
	v_add_f64 v[2:3], v[2:3], v[32:33]
	v_mul_f64 v[14:15], v[220:221], s[48:49]
	v_fma_f64 v[26:27], v[86:87], s[36:37], -v[30:31]
	v_mul_f64 v[32:33], v[90:91], s[34:35]
	v_fmac_f64_e32 v[30:31], s[36:37], v[86:87]
	v_add_f64 v[24:25], v[10:11], v[24:25]
	v_add_f64 v[0:1], v[0:1], v[16:17]
	v_fmac_f64_e32 v[6:7], s[44:45], v[86:87]
	v_fma_f64 v[10:11], v[86:87], s[26:27], -v[14:15]
	v_mul_f64 v[16:17], v[90:91], s[48:49]
	v_fma_f64 v[28:29], s[36:37], v[88:89], v[32:33]
	v_add_f64 v[30:31], v[30:31], v[40:41]
	v_fma_f64 v[32:33], v[88:89], s[36:37], -v[32:33]
	v_mul_f64 v[40:41], v[90:91], s[50:51]
	v_add_f64 v[6:7], v[6:7], v[12:13]
	v_add_f64 v[10:11], v[10:11], v[36:37]
	v_fma_f64 v[12:13], s[26:27], v[88:89], v[16:17]
	v_add_f64 v[32:33], v[32:33], v[46:47]
	v_fma_f64 v[36:37], s[20:21], v[88:89], v[40:41]
	v_mul_f64 v[46:47], v[220:221], s[28:29]
	v_add_f64 v[12:13], v[12:13], v[42:43]
	v_fma_f64 v[16:17], v[88:89], s[26:27], -v[16:17]
	v_add_f64 v[36:37], v[36:37], v[58:59]
	v_fma_f64 v[42:43], v[86:87], s[30:31], -v[46:47]
	v_mul_f64 v[58:59], v[220:221], s[16:17]
	v_fmac_f64_e32 v[14:15], s[26:27], v[86:87]
	v_add_f64 v[16:17], v[16:17], v[38:39]
	v_mul_f64 v[38:39], v[220:221], s[50:51]
	v_add_f64 v[42:43], v[42:43], v[60:61]
	v_fma_f64 v[60:61], v[86:87], s[22:23], -v[58:59]
	v_add_f64 v[68:69], v[68:69], v[212:213]
	v_add_f64 v[14:15], v[14:15], v[34:35]
	v_fma_f64 v[34:35], v[86:87], s[20:21], -v[38:39]
	v_fmac_f64_e32 v[38:39], s[20:21], v[86:87]
	v_add_f64 v[212:213], v[60:61], v[76:77]
	v_mul_f64 v[60:61], v[90:91], s[16:17]
	v_fmac_f64_e32 v[58:59], s[22:23], v[86:87]
	v_add_f64 v[38:39], v[38:39], v[48:49]
	v_mul_f64 v[48:49], v[90:91], s[28:29]
	v_add_f64 v[216:217], v[58:59], v[72:73]
	v_fma_f64 v[58:59], v[88:89], s[22:23], -v[60:61]
	v_add_f64 v[26:27], v[26:27], v[44:45]
	v_fma_f64 v[44:45], s[30:31], v[88:89], v[48:49]
	v_fma_f64 v[48:49], v[88:89], s[30:31], -v[48:49]
	v_add_f64 v[218:219], v[58:59], v[78:79]
	v_mul_f64 v[58:59], v[220:221], s[56:57]
	v_fma_f64 v[40:41], v[88:89], s[20:21], -v[40:41]
	v_fmac_f64_e32 v[46:47], s[30:31], v[86:87]
	v_add_f64 v[48:49], v[48:49], v[62:63]
	v_fma_f64 v[62:63], s[22:23], v[88:89], v[60:61]
	v_fma_f64 v[60:61], v[86:87], s[10:11], -v[58:59]
	v_add_f64 v[40:41], v[40:41], v[54:55]
	v_add_f64 v[46:47], v[46:47], v[56:57]
	v_mul_f64 v[54:55], v[220:221], s[42:43]
	v_mul_f64 v[56:57], v[90:91], s[42:43]
	v_add_f64 v[220:221], v[60:61], v[82:83]
	v_mul_f64 v[60:61], v[90:91], s[56:57]
	v_fmac_f64_e32 v[58:59], s[10:11], v[86:87]
	v_add_f64 v[28:29], v[28:29], v[50:51]
	v_add_f64 v[34:35], v[34:35], v[52:53]
	v_fma_f64 v[50:51], v[86:87], s[14:15], -v[54:55]
	v_fma_f64 v[52:53], s[14:15], v[88:89], v[56:57]
	v_fmac_f64_e32 v[54:55], s[14:15], v[86:87]
	v_fma_f64 v[56:57], v[88:89], s[14:15], -v[56:57]
	v_add_f64 v[214:215], v[62:63], v[80:81]
	v_fma_f64 v[62:63], s[10:11], v[88:89], v[60:61]
	v_add_f64 v[224:225], v[58:59], v[18:19]
	v_fma_f64 v[18:19], v[88:89], s[10:11], -v[60:61]
	v_add_f64 v[44:45], v[44:45], v[66:67]
	v_add_f64 v[50:51], v[50:51], v[68:69]
	;; [unrolled: 1-line block ×7, first 2 shown]
	ds_write_b128 v20, v[208:211]
	ds_write_b128 v20, v[0:3] offset:1360
	ds_write_b128 v20, v[10:13] offset:2720
	ds_write_b128 v20, v[26:29] offset:4080
	ds_write_b128 v20, v[34:37] offset:5440
	ds_write_b128 v20, v[42:45] offset:6800
	ds_write_b128 v20, v[50:53] offset:8160
	ds_write_b128 v20, v[212:215] offset:9520
	ds_write_b128 v20, v[220:223] offset:10880
	ds_write_b128 v20, v[224:227] offset:12240
	ds_write_b128 v20, v[216:219] offset:13600
	ds_write_b128 v20, v[54:57] offset:14960
	ds_write_b128 v20, v[46:49] offset:16320
	ds_write_b128 v20, v[38:41] offset:17680
	ds_write_b128 v20, v[30:33] offset:19040
	ds_write_b128 v20, v[14:17] offset:20400
	ds_write_b128 v20, v[6:9] offset:21760
	v_add_co_u32_e64 v0, s[0:1], s0, v4
	s_waitcnt lgkmcnt(0)
	s_nop 0
	v_addc_co_u32_e64 v1, s[0:1], 0, v5, s[0:1]
	s_barrier
	global_load_dwordx4 v[224:227], v[0:1], off offset:2640
	s_mov_b64 s[0:1], 0x5a50
	v_lshl_add_u64 v[0:1], v[4:5], 0, s[0:1]
	global_load_dwordx4 v[216:219], v[0:1], off offset:1360
	global_load_dwordx4 v[212:215], v[0:1], off offset:2720
	;; [unrolled: 1-line block ×3, first 2 shown]
	s_movk_i32 s0, 0x6000
	v_add_co_u32_e64 v0, s[0:1], s0, v4
	s_nop 1
	v_addc_co_u32_e64 v1, s[0:1], 0, v5, s[0:1]
	global_load_dwordx4 v[220:223], v[0:1], off offset:3984
	s_movk_i32 s0, 0x7000
	v_add_co_u32_e64 v0, s[0:1], s0, v4
	s_nop 1
	v_addc_co_u32_e64 v1, s[0:1], 0, v5, s[0:1]
	global_load_dwordx4 v[228:231], v[0:1], off offset:1248
	global_load_dwordx4 v[232:235], v[0:1], off offset:2608
	global_load_dwordx4 v[236:239], v[0:1], off offset:3968
	s_mov_b32 s0, 0x8000
	v_add_co_u32_e64 v0, s[0:1], s0, v4
	s_nop 1
	v_addc_co_u32_e64 v1, s[0:1], 0, v5, s[0:1]
	global_load_dwordx4 v[240:243], v[0:1], off offset:1232
	global_load_dwordx4 v[244:247], v[0:1], off offset:2592
	s_nop 0
	global_load_dwordx4 v[0:3], v[0:1], off offset:3952
	s_mov_b32 s0, 0x9000
	v_add_co_u32_e64 v18, s[0:1], s0, v4
	s_nop 1
	v_addc_co_u32_e64 v19, s[0:1], 0, v5, s[0:1]
	global_load_dwordx4 v[6:9], v[18:19], off offset:1216
	ds_read_b128 v[10:13], v20
	ds_read_b128 v[14:17], v20 offset:1360
	global_load_dwordx4 v[30:33], v[18:19], off offset:2576
	s_mov_b32 s0, 0xa000
	v_add_co_u32_e64 v4, s[0:1], s0, v4
	ds_read_b128 v[38:41], v20 offset:2720
	s_nop 0
	v_addc_co_u32_e64 v5, s[0:1], 0, v5, s[0:1]
	global_load_dwordx4 v[34:37], v[4:5], off offset:1200
	ds_read_b128 v[46:49], v20 offset:5440
	s_waitcnt vmcnt(13) lgkmcnt(3)
	v_mul_f64 v[24:25], v[12:13], v[226:227]
	v_mul_f64 v[28:29], v[10:11], v[226:227]
	v_fma_f64 v[26:27], v[10:11], v[224:225], -v[24:25]
	v_fmac_f64_e32 v[28:29], v[12:13], v[224:225]
	global_load_dwordx4 v[10:13], v[18:19], off offset:3936
	ds_write_b128 v20, v[26:29]
	s_waitcnt vmcnt(13) lgkmcnt(3)
	v_mul_f64 v[24:25], v[16:17], v[218:219]
	v_mul_f64 v[28:29], v[14:15], v[218:219]
	v_fma_f64 v[26:27], v[14:15], v[216:217], -v[24:25]
	v_fmac_f64_e32 v[28:29], v[16:17], v[216:217]
	ds_write_b128 v20, v[26:29] offset:1360
	global_load_dwordx4 v[14:17], v[4:5], off offset:2560
	ds_read_b128 v[26:29], v20 offset:4080
	s_waitcnt vmcnt(13) lgkmcnt(4)
	v_mul_f64 v[18:19], v[40:41], v[214:215]
	v_mul_f64 v[44:45], v[38:39], v[214:215]
	v_fma_f64 v[42:43], v[38:39], v[212:213], -v[18:19]
	v_fmac_f64_e32 v[44:45], v[40:41], v[212:213]
	global_load_dwordx4 v[38:41], v[4:5], off offset:3920
	ds_write_b128 v20, v[42:45] offset:2720
	s_waitcnt vmcnt(13) lgkmcnt(1)
	v_mul_f64 v[4:5], v[28:29], v[210:211]
	v_mul_f64 v[44:45], v[26:27], v[210:211]
	v_fma_f64 v[42:43], v[26:27], v[208:209], -v[4:5]
	v_fmac_f64_e32 v[44:45], v[28:29], v[208:209]
	ds_read_b128 v[26:29], v20 offset:6800
	ds_write_b128 v20, v[42:45] offset:4080
	s_waitcnt vmcnt(12)
	v_mul_f64 v[4:5], v[48:49], v[222:223]
	v_mul_f64 v[44:45], v[46:47], v[222:223]
	v_fma_f64 v[42:43], v[46:47], v[220:221], -v[4:5]
	v_fmac_f64_e32 v[44:45], v[48:49], v[220:221]
	ds_read_b128 v[46:49], v20 offset:8160
	ds_write_b128 v20, v[42:45] offset:5440
	s_waitcnt vmcnt(11) lgkmcnt(3)
	v_mul_f64 v[4:5], v[28:29], v[230:231]
	v_mul_f64 v[44:45], v[26:27], v[230:231]
	v_fma_f64 v[42:43], v[26:27], v[228:229], -v[4:5]
	v_fmac_f64_e32 v[44:45], v[28:29], v[228:229]
	ds_read_b128 v[26:29], v20 offset:9520
	ds_write_b128 v20, v[42:45] offset:6800
	s_waitcnt vmcnt(10) lgkmcnt(3)
	v_mul_f64 v[4:5], v[48:49], v[234:235]
	v_mul_f64 v[44:45], v[46:47], v[234:235]
	v_fma_f64 v[42:43], v[46:47], v[232:233], -v[4:5]
	v_fmac_f64_e32 v[44:45], v[48:49], v[232:233]
	ds_read_b128 v[46:49], v20 offset:10880
	ds_write_b128 v20, v[42:45] offset:8160
	s_waitcnt vmcnt(9) lgkmcnt(3)
	v_mul_f64 v[4:5], v[28:29], v[238:239]
	v_mul_f64 v[44:45], v[26:27], v[238:239]
	v_fma_f64 v[42:43], v[26:27], v[236:237], -v[4:5]
	v_fmac_f64_e32 v[44:45], v[28:29], v[236:237]
	ds_read_b128 v[26:29], v20 offset:12240
	ds_write_b128 v20, v[42:45] offset:9520
	s_waitcnt vmcnt(8) lgkmcnt(3)
	v_mul_f64 v[4:5], v[48:49], v[242:243]
	v_mul_f64 v[44:45], v[46:47], v[242:243]
	v_fma_f64 v[42:43], v[46:47], v[240:241], -v[4:5]
	v_fmac_f64_e32 v[44:45], v[48:49], v[240:241]
	ds_read_b128 v[46:49], v20 offset:13600
	ds_write_b128 v20, v[42:45] offset:10880
	s_waitcnt vmcnt(7) lgkmcnt(3)
	v_mul_f64 v[4:5], v[28:29], v[246:247]
	v_mul_f64 v[44:45], v[26:27], v[246:247]
	v_fma_f64 v[42:43], v[26:27], v[244:245], -v[4:5]
	v_fmac_f64_e32 v[44:45], v[28:29], v[244:245]
	ds_read_b128 v[26:29], v20 offset:14960
	ds_write_b128 v20, v[42:45] offset:12240
	s_waitcnt vmcnt(6) lgkmcnt(3)
	v_mul_f64 v[4:5], v[48:49], v[2:3]
	v_mul_f64 v[44:45], v[46:47], v[2:3]
	v_fma_f64 v[42:43], v[46:47], v[0:1], -v[4:5]
	v_fmac_f64_e32 v[44:45], v[48:49], v[0:1]
	ds_write_b128 v20, v[42:45] offset:13600
	s_waitcnt vmcnt(5) lgkmcnt(2)
	v_mul_f64 v[0:1], v[28:29], v[8:9]
	ds_read_b128 v[42:45], v20 offset:16320
	v_mul_f64 v[2:3], v[26:27], v[8:9]
	v_fma_f64 v[0:1], v[26:27], v[6:7], -v[0:1]
	v_fmac_f64_e32 v[2:3], v[28:29], v[6:7]
	ds_write_b128 v20, v[0:3] offset:14960
	ds_read_b128 v[0:3], v20 offset:17680
	ds_read_b128 v[26:29], v20 offset:19040
	s_waitcnt vmcnt(4) lgkmcnt(3)
	v_mul_f64 v[4:5], v[44:45], v[32:33]
	v_mul_f64 v[6:7], v[42:43], v[32:33]
	v_fma_f64 v[4:5], v[42:43], v[30:31], -v[4:5]
	v_fmac_f64_e32 v[6:7], v[44:45], v[30:31]
	ds_write_b128 v20, v[4:7] offset:16320
	s_waitcnt vmcnt(2) lgkmcnt(2)
	v_mul_f64 v[4:5], v[2:3], v[12:13]
	v_mul_f64 v[6:7], v[0:1], v[12:13]
	v_fma_f64 v[4:5], v[0:1], v[10:11], -v[4:5]
	v_fmac_f64_e32 v[6:7], v[2:3], v[10:11]
	ds_read_b128 v[0:3], v20 offset:20400
	ds_write_b128 v20, v[4:7] offset:17680
	s_waitcnt lgkmcnt(3)
	v_mul_f64 v[4:5], v[28:29], v[36:37]
	v_mul_f64 v[6:7], v[26:27], v[36:37]
	v_fma_f64 v[4:5], v[26:27], v[34:35], -v[4:5]
	v_fmac_f64_e32 v[6:7], v[28:29], v[34:35]
	ds_write_b128 v20, v[4:7] offset:19040
	ds_read_b128 v[4:7], v20 offset:21760
	s_waitcnt vmcnt(1) lgkmcnt(3)
	v_mul_f64 v[8:9], v[2:3], v[16:17]
	v_mul_f64 v[10:11], v[0:1], v[16:17]
	v_fma_f64 v[8:9], v[0:1], v[14:15], -v[8:9]
	v_fmac_f64_e32 v[10:11], v[2:3], v[14:15]
	s_waitcnt vmcnt(0) lgkmcnt(0)
	v_mul_f64 v[0:1], v[6:7], v[40:41]
	v_mul_f64 v[2:3], v[4:5], v[40:41]
	v_fma_f64 v[0:1], v[4:5], v[38:39], -v[0:1]
	v_fmac_f64_e32 v[2:3], v[6:7], v[38:39]
	ds_write_b128 v20, v[8:11] offset:20400
	ds_write_b128 v20, v[0:3] offset:21760
	s_waitcnt lgkmcnt(0)
	s_barrier
	ds_read_b128 v[0:3], v20
	ds_read_b128 v[8:11], v20 offset:1360
	ds_read_b128 v[4:7], v20 offset:2720
	;; [unrolled: 1-line block ×16, first 2 shown]
	s_waitcnt lgkmcnt(14)
	v_add_f64 v[30:31], v[2:3], v[10:11]
	v_add_f64 v[24:25], v[0:1], v[8:9]
	;; [unrolled: 1-line block ×4, first 2 shown]
	s_waitcnt lgkmcnt(13)
	v_add_f64 v[30:31], v[30:31], v[254:255]
	v_add_f64 v[24:25], v[24:25], v[252:253]
	s_waitcnt lgkmcnt(12)
	v_add_f64 v[30:31], v[30:31], v[246:247]
	v_add_f64 v[24:25], v[24:25], v[244:245]
	;; [unrolled: 3-line block ×14, first 2 shown]
	v_add_f64 v[10:11], v[10:11], -v[28:29]
	v_add_f64 v[216:217], v[24:25], v[26:27]
	v_add_f64 v[24:25], v[8:9], v[26:27]
	v_add_f64 v[8:9], v[8:9], -v[26:27]
	v_mul_f64 v[26:27], v[10:11], s[24:25]
	v_mul_f64 v[36:37], v[10:11], s[18:19]
	v_mul_f64 v[44:45], v[10:11], s[12:13]
	v_mul_f64 v[52:53], v[10:11], s[8:9]
	v_mul_f64 v[60:61], v[10:11], s[16:17]
	v_mul_f64 v[68:69], v[10:11], s[28:29]
	v_mul_f64 v[76:77], v[10:11], s[34:35]
	v_mul_f64 v[10:11], v[10:11], s[40:41]
	v_fma_f64 v[28:29], s[26:27], v[24:25], v[26:27]
	v_fma_f64 v[26:27], v[24:25], s[26:27], -v[26:27]
	v_fma_f64 v[38:39], s[20:21], v[24:25], v[36:37]
	v_fma_f64 v[36:37], v[24:25], s[20:21], -v[36:37]
	;; [unrolled: 2-line block ×8, first 2 shown]
	v_add_f64 v[28:29], v[0:1], v[28:29]
	v_mul_f64 v[32:33], v[30:31], s[26:27]
	v_add_f64 v[26:27], v[0:1], v[26:27]
	v_add_f64 v[38:39], v[0:1], v[38:39]
	v_mul_f64 v[40:41], v[30:31], s[20:21]
	v_add_f64 v[36:37], v[0:1], v[36:37]
	;; [unrolled: 3-line block ×8, first 2 shown]
	v_add_f64 v[10:11], v[6:7], v[18:19]
	v_add_f64 v[6:7], v[6:7], -v[18:19]
	v_fma_f64 v[34:35], s[48:49], v[8:9], v[32:33]
	v_fmac_f64_e32 v[32:33], s[24:25], v[8:9]
	v_fma_f64 v[42:43], s[50:51], v[8:9], v[40:41]
	v_fmac_f64_e32 v[40:41], s[18:19], v[8:9]
	;; [unrolled: 2-line block ×8, first 2 shown]
	v_add_f64 v[8:9], v[4:5], v[16:17]
	v_add_f64 v[4:5], v[4:5], -v[16:17]
	v_mul_f64 v[16:17], v[6:7], s[18:19]
	v_fma_f64 v[18:19], s[20:21], v[8:9], v[16:17]
	v_mul_f64 v[24:25], v[10:11], s[20:21]
	v_fma_f64 v[16:17], v[8:9], s[20:21], -v[16:17]
	v_add_f64 v[32:33], v[2:3], v[32:33]
	v_add_f64 v[18:19], v[18:19], v[28:29]
	v_fma_f64 v[28:29], s[50:51], v[4:5], v[24:25]
	v_add_f64 v[16:17], v[16:17], v[26:27]
	v_fmac_f64_e32 v[24:25], s[18:19], v[4:5]
	v_mul_f64 v[26:27], v[6:7], s[8:9]
	v_add_f64 v[34:35], v[2:3], v[34:35]
	v_add_f64 v[42:43], v[2:3], v[42:43]
	;; [unrolled: 1-line block ×16, first 2 shown]
	v_fma_f64 v[30:31], s[10:11], v[8:9], v[26:27]
	v_mul_f64 v[32:33], v[10:11], s[10:11]
	v_fma_f64 v[26:27], v[8:9], s[10:11], -v[26:27]
	v_add_f64 v[28:29], v[28:29], v[34:35]
	v_fma_f64 v[34:35], s[56:57], v[4:5], v[32:33]
	v_add_f64 v[26:27], v[26:27], v[36:37]
	v_fmac_f64_e32 v[32:33], s[8:9], v[4:5]
	v_mul_f64 v[36:37], v[6:7], s[28:29]
	v_add_f64 v[30:31], v[30:31], v[38:39]
	v_add_f64 v[32:33], v[32:33], v[40:41]
	v_fma_f64 v[38:39], s[30:31], v[8:9], v[36:37]
	v_mul_f64 v[40:41], v[10:11], s[30:31]
	v_fma_f64 v[36:37], v[8:9], s[30:31], -v[36:37]
	v_add_f64 v[34:35], v[34:35], v[42:43]
	v_fma_f64 v[42:43], s[54:55], v[4:5], v[40:41]
	v_add_f64 v[36:37], v[36:37], v[44:45]
	v_fmac_f64_e32 v[40:41], s[28:29], v[4:5]
	v_mul_f64 v[44:45], v[6:7], s[40:41]
	v_add_f64 v[38:39], v[38:39], v[46:47]
	v_add_f64 v[40:41], v[40:41], v[48:49]
	;; [unrolled: 10-line block ×5, first 2 shown]
	v_fma_f64 v[70:71], s[14:15], v[8:9], v[68:69]
	v_mul_f64 v[72:73], v[10:11], s[14:15]
	v_mul_f64 v[10:11], v[10:11], s[26:27]
	v_add_f64 v[70:71], v[70:71], v[78:79]
	v_fma_f64 v[78:79], s[24:25], v[4:5], v[10:11]
	v_fmac_f64_e32 v[10:11], s[48:49], v[4:5]
	v_fma_f64 v[68:69], v[8:9], s[14:15], -v[68:69]
	v_mul_f64 v[6:7], v[6:7], s[48:49]
	v_add_f64 v[2:3], v[10:11], v[2:3]
	v_add_f64 v[10:11], v[254:255], -v[14:15]
	v_add_f64 v[66:67], v[66:67], v[74:75]
	v_fma_f64 v[74:75], s[12:13], v[4:5], v[72:73]
	v_add_f64 v[68:69], v[68:69], v[76:77]
	v_fmac_f64_e32 v[72:73], s[42:43], v[4:5]
	v_fma_f64 v[76:77], s[26:27], v[8:9], v[6:7]
	v_fma_f64 v[6:7], v[8:9], s[26:27], -v[6:7]
	v_add_f64 v[4:5], v[252:253], v[12:13]
	v_add_f64 v[8:9], v[252:253], -v[12:13]
	v_mul_f64 v[12:13], v[10:11], s[12:13]
	v_add_f64 v[0:1], v[6:7], v[0:1]
	v_add_f64 v[6:7], v[254:255], v[14:15]
	v_fma_f64 v[14:15], s[14:15], v[4:5], v[12:13]
	v_add_f64 v[14:15], v[14:15], v[18:19]
	v_mul_f64 v[18:19], v[6:7], s[14:15]
	v_add_f64 v[72:73], v[72:73], v[80:81]
	v_fma_f64 v[80:81], s[42:43], v[8:9], v[18:19]
	v_fma_f64 v[12:13], v[4:5], s[14:15], -v[12:13]
	v_fmac_f64_e32 v[18:19], s[12:13], v[8:9]
	v_add_f64 v[12:13], v[12:13], v[16:17]
	v_add_f64 v[16:17], v[18:19], v[24:25]
	v_mul_f64 v[18:19], v[10:11], s[28:29]
	v_fma_f64 v[24:25], s[30:31], v[4:5], v[18:19]
	v_add_f64 v[24:25], v[24:25], v[30:31]
	v_mul_f64 v[30:31], v[6:7], s[30:31]
	v_add_f64 v[28:29], v[80:81], v[28:29]
	v_fma_f64 v[80:81], s[54:55], v[8:9], v[30:31]
	v_fma_f64 v[18:19], v[4:5], s[30:31], -v[18:19]
	v_fmac_f64_e32 v[30:31], s[28:29], v[8:9]
	v_add_f64 v[18:19], v[18:19], v[26:27]
	v_add_f64 v[26:27], v[30:31], v[32:33]
	v_mul_f64 v[30:31], v[10:11], s[52:53]
	;; [unrolled: 10-line block ×6, first 2 shown]
	v_fma_f64 v[64:65], s[10:11], v[4:5], v[62:63]
	v_add_f64 v[64:65], v[64:65], v[70:71]
	v_mul_f64 v[70:71], v[6:7], s[10:11]
	v_add_f64 v[66:67], v[80:81], v[66:67]
	v_fma_f64 v[80:81], s[56:57], v[8:9], v[70:71]
	v_fma_f64 v[62:63], v[4:5], s[10:11], -v[62:63]
	v_fmac_f64_e32 v[70:71], s[8:9], v[8:9]
	v_mul_f64 v[10:11], v[10:11], s[34:35]
	v_add_f64 v[76:77], v[76:77], v[84:85]
	v_add_f64 v[62:63], v[62:63], v[68:69]
	;; [unrolled: 1-line block ×3, first 2 shown]
	v_fma_f64 v[70:71], s[36:37], v[4:5], v[10:11]
	v_mul_f64 v[6:7], v[6:7], s[36:37]
	v_fma_f64 v[4:5], v[4:5], s[36:37], -v[10:11]
	v_add_f64 v[10:11], v[246:247], -v[250:251]
	v_add_f64 v[78:79], v[78:79], v[86:87]
	v_add_f64 v[70:71], v[70:71], v[76:77]
	v_fma_f64 v[72:73], s[46:47], v[8:9], v[6:7]
	v_add_f64 v[0:1], v[4:5], v[0:1]
	v_fmac_f64_e32 v[6:7], s[34:35], v[8:9]
	v_add_f64 v[4:5], v[244:245], v[248:249]
	v_mul_f64 v[76:77], v[10:11], s[8:9]
	v_add_f64 v[72:73], v[72:73], v[78:79]
	v_add_f64 v[2:3], v[6:7], v[2:3]
	;; [unrolled: 1-line block ×3, first 2 shown]
	v_fma_f64 v[78:79], s[10:11], v[4:5], v[76:77]
	v_add_f64 v[74:75], v[74:75], v[82:83]
	v_add_f64 v[8:9], v[244:245], -v[248:249]
	v_add_f64 v[14:15], v[78:79], v[14:15]
	v_mul_f64 v[78:79], v[6:7], s[10:11]
	v_fma_f64 v[76:77], v[4:5], s[10:11], -v[76:77]
	v_add_f64 v[74:75], v[80:81], v[74:75]
	v_fma_f64 v[80:81], s[56:57], v[8:9], v[78:79]
	v_add_f64 v[12:13], v[76:77], v[12:13]
	v_fmac_f64_e32 v[78:79], s[8:9], v[8:9]
	v_mul_f64 v[76:77], v[10:11], s[40:41]
	v_add_f64 v[16:17], v[78:79], v[16:17]
	v_fma_f64 v[78:79], s[44:45], v[4:5], v[76:77]
	v_add_f64 v[24:25], v[78:79], v[24:25]
	v_mul_f64 v[78:79], v[6:7], s[44:45]
	v_fma_f64 v[76:77], v[4:5], s[44:45], -v[76:77]
	v_add_f64 v[28:29], v[80:81], v[28:29]
	v_fma_f64 v[80:81], s[52:53], v[8:9], v[78:79]
	v_add_f64 v[18:19], v[76:77], v[18:19]
	v_fmac_f64_e32 v[78:79], s[40:41], v[8:9]
	v_mul_f64 v[76:77], v[10:11], s[38:39]
	v_add_f64 v[26:27], v[78:79], v[26:27]
	v_fma_f64 v[78:79], s[22:23], v[4:5], v[76:77]
	;; [unrolled: 10-line block ×6, first 2 shown]
	v_fma_f64 v[76:77], v[4:5], s[30:31], -v[76:77]
	v_mul_f64 v[10:11], v[10:11], s[50:51]
	v_add_f64 v[64:65], v[78:79], v[64:65]
	v_mul_f64 v[78:79], v[6:7], s[30:31]
	v_add_f64 v[62:63], v[76:77], v[62:63]
	v_fma_f64 v[76:77], s[20:21], v[4:5], v[10:11]
	v_mul_f64 v[6:7], v[6:7], s[20:21]
	v_add_f64 v[70:71], v[76:77], v[70:71]
	v_fma_f64 v[76:77], s[18:19], v[8:9], v[6:7]
	v_fma_f64 v[4:5], v[4:5], s[20:21], -v[10:11]
	v_add_f64 v[10:11], v[238:239], -v[242:243]
	v_add_f64 v[66:67], v[80:81], v[66:67]
	v_fma_f64 v[80:81], s[28:29], v[8:9], v[78:79]
	v_fmac_f64_e32 v[78:79], s[54:55], v[8:9]
	v_add_f64 v[72:73], v[76:77], v[72:73]
	v_add_f64 v[0:1], v[4:5], v[0:1]
	v_fmac_f64_e32 v[6:7], s[50:51], v[8:9]
	v_add_f64 v[4:5], v[236:237], v[240:241]
	v_mul_f64 v[76:77], v[10:11], s[16:17]
	v_add_f64 v[68:69], v[78:79], v[68:69]
	v_add_f64 v[2:3], v[6:7], v[2:3]
	;; [unrolled: 1-line block ×3, first 2 shown]
	v_fma_f64 v[78:79], s[22:23], v[4:5], v[76:77]
	v_add_f64 v[8:9], v[236:237], -v[240:241]
	v_add_f64 v[14:15], v[78:79], v[14:15]
	v_mul_f64 v[78:79], v[6:7], s[22:23]
	v_fma_f64 v[76:77], v[4:5], s[22:23], -v[76:77]
	v_add_f64 v[74:75], v[80:81], v[74:75]
	v_fma_f64 v[80:81], s[38:39], v[8:9], v[78:79]
	v_add_f64 v[12:13], v[76:77], v[12:13]
	v_fmac_f64_e32 v[78:79], s[16:17], v[8:9]
	v_mul_f64 v[76:77], v[10:11], s[46:47]
	v_add_f64 v[16:17], v[78:79], v[16:17]
	v_fma_f64 v[78:79], s[36:37], v[4:5], v[76:77]
	v_add_f64 v[24:25], v[78:79], v[24:25]
	v_mul_f64 v[78:79], v[6:7], s[36:37]
	v_fma_f64 v[76:77], v[4:5], s[36:37], -v[76:77]
	v_add_f64 v[28:29], v[80:81], v[28:29]
	v_fma_f64 v[80:81], s[34:35], v[8:9], v[78:79]
	v_add_f64 v[18:19], v[76:77], v[18:19]
	v_fmac_f64_e32 v[78:79], s[46:47], v[8:9]
	v_mul_f64 v[76:77], v[10:11], s[50:51]
	v_add_f64 v[26:27], v[78:79], v[26:27]
	v_fma_f64 v[78:79], s[20:21], v[4:5], v[76:77]
	;; [unrolled: 10-line block ×6, first 2 shown]
	v_fma_f64 v[76:77], v[4:5], s[26:27], -v[76:77]
	v_mul_f64 v[10:11], v[10:11], s[28:29]
	v_add_f64 v[64:65], v[78:79], v[64:65]
	v_mul_f64 v[78:79], v[6:7], s[26:27]
	v_add_f64 v[62:63], v[76:77], v[62:63]
	v_fma_f64 v[76:77], s[30:31], v[4:5], v[10:11]
	v_mul_f64 v[6:7], v[6:7], s[30:31]
	v_add_f64 v[70:71], v[76:77], v[70:71]
	v_fma_f64 v[76:77], s[54:55], v[8:9], v[6:7]
	v_fma_f64 v[4:5], v[4:5], s[30:31], -v[10:11]
	v_add_f64 v[10:11], v[230:231], -v[234:235]
	v_add_f64 v[66:67], v[80:81], v[66:67]
	v_fma_f64 v[80:81], s[48:49], v[8:9], v[78:79]
	v_fmac_f64_e32 v[78:79], s[24:25], v[8:9]
	v_add_f64 v[72:73], v[76:77], v[72:73]
	v_add_f64 v[0:1], v[4:5], v[0:1]
	v_fmac_f64_e32 v[6:7], s[28:29], v[8:9]
	v_add_f64 v[4:5], v[228:229], v[232:233]
	v_mul_f64 v[76:77], v[10:11], s[28:29]
	v_add_f64 v[68:69], v[78:79], v[68:69]
	v_add_f64 v[2:3], v[6:7], v[2:3]
	;; [unrolled: 1-line block ×3, first 2 shown]
	v_fma_f64 v[78:79], s[30:31], v[4:5], v[76:77]
	v_add_f64 v[8:9], v[228:229], -v[232:233]
	v_add_f64 v[14:15], v[78:79], v[14:15]
	v_mul_f64 v[78:79], v[6:7], s[30:31]
	v_fma_f64 v[76:77], v[4:5], s[30:31], -v[76:77]
	v_add_f64 v[74:75], v[80:81], v[74:75]
	v_fma_f64 v[80:81], s[54:55], v[8:9], v[78:79]
	v_add_f64 v[12:13], v[76:77], v[12:13]
	v_fmac_f64_e32 v[78:79], s[28:29], v[8:9]
	v_mul_f64 v[76:77], v[10:11], s[38:39]
	v_add_f64 v[16:17], v[78:79], v[16:17]
	v_fma_f64 v[78:79], s[22:23], v[4:5], v[76:77]
	v_add_f64 v[24:25], v[78:79], v[24:25]
	v_mul_f64 v[78:79], v[6:7], s[22:23]
	v_fma_f64 v[76:77], v[4:5], s[22:23], -v[76:77]
	v_add_f64 v[28:29], v[80:81], v[28:29]
	v_fma_f64 v[80:81], s[16:17], v[8:9], v[78:79]
	v_add_f64 v[18:19], v[76:77], v[18:19]
	v_fmac_f64_e32 v[78:79], s[38:39], v[8:9]
	v_mul_f64 v[76:77], v[10:11], s[24:25]
	v_add_f64 v[26:27], v[78:79], v[26:27]
	v_fma_f64 v[78:79], s[26:27], v[4:5], v[76:77]
	;; [unrolled: 10-line block ×6, first 2 shown]
	v_fma_f64 v[76:77], v[4:5], s[44:45], -v[76:77]
	v_mul_f64 v[10:11], v[10:11], s[42:43]
	v_add_f64 v[64:65], v[78:79], v[64:65]
	v_mul_f64 v[78:79], v[6:7], s[44:45]
	v_add_f64 v[62:63], v[76:77], v[62:63]
	v_fma_f64 v[76:77], s[14:15], v[4:5], v[10:11]
	v_mul_f64 v[6:7], v[6:7], s[14:15]
	v_add_f64 v[70:71], v[76:77], v[70:71]
	v_fma_f64 v[76:77], s[12:13], v[8:9], v[6:7]
	v_fma_f64 v[4:5], v[4:5], s[14:15], -v[10:11]
	v_add_f64 v[10:11], v[222:223], -v[226:227]
	v_add_f64 v[66:67], v[80:81], v[66:67]
	v_fma_f64 v[80:81], s[52:53], v[8:9], v[78:79]
	v_fmac_f64_e32 v[78:79], s[40:41], v[8:9]
	v_add_f64 v[72:73], v[76:77], v[72:73]
	v_add_f64 v[0:1], v[4:5], v[0:1]
	v_fmac_f64_e32 v[6:7], s[42:43], v[8:9]
	v_add_f64 v[4:5], v[220:221], v[224:225]
	v_mul_f64 v[76:77], v[10:11], s[34:35]
	v_add_f64 v[68:69], v[78:79], v[68:69]
	v_add_f64 v[2:3], v[6:7], v[2:3]
	;; [unrolled: 1-line block ×3, first 2 shown]
	v_fma_f64 v[78:79], s[36:37], v[4:5], v[76:77]
	v_add_f64 v[8:9], v[220:221], -v[224:225]
	v_add_f64 v[14:15], v[78:79], v[14:15]
	v_mul_f64 v[78:79], v[6:7], s[36:37]
	v_fma_f64 v[76:77], v[4:5], s[36:37], -v[76:77]
	v_add_f64 v[74:75], v[80:81], v[74:75]
	v_fma_f64 v[80:81], s[46:47], v[8:9], v[78:79]
	v_add_f64 v[12:13], v[76:77], v[12:13]
	v_fmac_f64_e32 v[78:79], s[34:35], v[8:9]
	v_mul_f64 v[76:77], v[10:11], s[42:43]
	v_add_f64 v[16:17], v[78:79], v[16:17]
	v_fma_f64 v[78:79], s[14:15], v[4:5], v[76:77]
	v_add_f64 v[24:25], v[78:79], v[24:25]
	v_mul_f64 v[78:79], v[6:7], s[14:15]
	v_fma_f64 v[76:77], v[4:5], s[14:15], -v[76:77]
	v_add_f64 v[28:29], v[80:81], v[28:29]
	v_fma_f64 v[80:81], s[12:13], v[8:9], v[78:79]
	v_add_f64 v[18:19], v[76:77], v[18:19]
	v_fmac_f64_e32 v[78:79], s[42:43], v[8:9]
	v_mul_f64 v[76:77], v[10:11], s[8:9]
	v_add_f64 v[26:27], v[78:79], v[26:27]
	v_fma_f64 v[78:79], s[10:11], v[4:5], v[76:77]
	v_add_f64 v[32:33], v[78:79], v[32:33]
	v_mul_f64 v[78:79], v[6:7], s[10:11]
	v_fma_f64 v[76:77], v[4:5], s[10:11], -v[76:77]
	v_add_f64 v[34:35], v[80:81], v[34:35]
	v_fma_f64 v[80:81], s[56:57], v[8:9], v[78:79]
	v_add_f64 v[30:31], v[76:77], v[30:31]
	v_fmac_f64_e32 v[78:79], s[8:9], v[8:9]
	v_mul_f64 v[76:77], v[10:11], s[54:55]
	v_add_f64 v[36:37], v[78:79], v[36:37]
	v_fma_f64 v[78:79], s[30:31], v[4:5], v[76:77]
	v_add_f64 v[40:41], v[78:79], v[40:41]
	v_mul_f64 v[78:79], v[6:7], s[30:31]
	v_fma_f64 v[76:77], v[4:5], s[30:31], -v[76:77]
	v_add_f64 v[42:43], v[80:81], v[42:43]
	v_fma_f64 v[80:81], s[28:29], v[8:9], v[78:79]
	v_add_f64 v[38:39], v[76:77], v[38:39]
	v_fmac_f64_e32 v[78:79], s[54:55], v[8:9]
	v_mul_f64 v[76:77], v[10:11], s[24:25]
	v_add_f64 v[44:45], v[78:79], v[44:45]
	v_fma_f64 v[78:79], s[26:27], v[4:5], v[76:77]
	v_add_f64 v[48:49], v[78:79], v[48:49]
	v_mul_f64 v[78:79], v[6:7], s[26:27]
	v_fma_f64 v[76:77], v[4:5], s[26:27], -v[76:77]
	v_add_f64 v[50:51], v[80:81], v[50:51]
	v_fma_f64 v[80:81], s[48:49], v[8:9], v[78:79]
	v_add_f64 v[46:47], v[76:77], v[46:47]
	v_fmac_f64_e32 v[78:79], s[24:25], v[8:9]
	v_mul_f64 v[76:77], v[10:11], s[40:41]
	v_add_f64 v[52:53], v[78:79], v[52:53]
	v_fma_f64 v[78:79], s[44:45], v[4:5], v[76:77]
	v_add_f64 v[56:57], v[78:79], v[56:57]
	v_mul_f64 v[78:79], v[6:7], s[44:45]
	v_fma_f64 v[76:77], v[4:5], s[44:45], -v[76:77]
	v_add_f64 v[58:59], v[80:81], v[58:59]
	v_fma_f64 v[80:81], s[52:53], v[8:9], v[78:79]
	v_add_f64 v[54:55], v[76:77], v[54:55]
	v_fmac_f64_e32 v[78:79], s[40:41], v[8:9]
	v_mul_f64 v[76:77], v[10:11], s[50:51]
	v_add_f64 v[60:61], v[78:79], v[60:61]
	v_fma_f64 v[78:79], s[20:21], v[4:5], v[76:77]
	v_fma_f64 v[76:77], v[4:5], s[20:21], -v[76:77]
	v_mul_f64 v[10:11], v[10:11], s[16:17]
	v_add_f64 v[64:65], v[78:79], v[64:65]
	v_mul_f64 v[78:79], v[6:7], s[20:21]
	v_add_f64 v[62:63], v[76:77], v[62:63]
	v_fma_f64 v[76:77], s[22:23], v[4:5], v[10:11]
	v_mul_f64 v[6:7], v[6:7], s[22:23]
	v_add_f64 v[66:67], v[80:81], v[66:67]
	v_fma_f64 v[80:81], s[18:19], v[8:9], v[78:79]
	v_add_f64 v[70:71], v[76:77], v[70:71]
	v_fma_f64 v[76:77], s[38:39], v[8:9], v[6:7]
	v_fma_f64 v[4:5], v[4:5], s[22:23], -v[10:11]
	v_add_f64 v[86:87], v[210:211], -v[214:215]
	v_add_f64 v[74:75], v[80:81], v[74:75]
	v_add_f64 v[72:73], v[76:77], v[72:73]
	;; [unrolled: 1-line block ×4, first 2 shown]
	v_mul_f64 v[4:5], v[86:87], s[40:41]
	v_fmac_f64_e32 v[78:79], s[50:51], v[8:9]
	v_fmac_f64_e32 v[6:7], s[16:17], v[8:9]
	v_add_f64 v[82:83], v[210:211], v[214:215]
	v_fma_f64 v[0:1], s[44:45], v[80:81], v[4:5]
	v_fma_f64 v[4:5], v[80:81], s[44:45], -v[4:5]
	v_mul_f64 v[8:9], v[86:87], s[48:49]
	v_add_f64 v[68:69], v[78:79], v[68:69]
	v_add_f64 v[78:79], v[6:7], v[2:3]
	v_add_f64 v[84:85], v[208:209], -v[212:213]
	v_mul_f64 v[6:7], v[82:83], s[44:45]
	v_add_f64 v[212:213], v[4:5], v[12:13]
	v_fma_f64 v[4:5], s[26:27], v[80:81], v[8:9]
	v_fma_f64 v[2:3], s[52:53], v[84:85], v[6:7]
	v_fmac_f64_e32 v[6:7], s[40:41], v[84:85]
	v_add_f64 v[4:5], v[4:5], v[24:25]
	v_mul_f64 v[10:11], v[82:83], s[26:27]
	v_mul_f64 v[24:25], v[86:87], s[50:51]
	v_add_f64 v[214:215], v[6:7], v[16:17]
	v_fma_f64 v[6:7], s[24:25], v[84:85], v[10:11]
	v_fma_f64 v[8:9], v[80:81], s[26:27], -v[8:9]
	v_fmac_f64_e32 v[10:11], s[48:49], v[84:85]
	v_mul_f64 v[12:13], v[86:87], s[34:35]
	v_fma_f64 v[16:17], s[20:21], v[80:81], v[24:25]
	v_fma_f64 v[24:25], v[80:81], s[20:21], -v[24:25]
	v_add_f64 v[208:209], v[8:9], v[18:19]
	v_add_f64 v[210:211], v[10:11], v[26:27]
	v_fma_f64 v[8:9], s[36:37], v[80:81], v[12:13]
	v_fma_f64 v[12:13], v[80:81], s[36:37], -v[12:13]
	v_add_f64 v[26:27], v[24:25], v[38:39]
	v_mul_f64 v[24:25], v[86:87], s[28:29]
	v_add_f64 v[12:13], v[12:13], v[30:31]
	v_fma_f64 v[30:31], s[30:31], v[80:81], v[24:25]
	v_fma_f64 v[24:25], v[80:81], s[30:31], -v[24:25]
	v_add_f64 v[0:1], v[0:1], v[14:15]
	v_add_f64 v[6:7], v[6:7], v[34:35]
	v_mul_f64 v[14:15], v[82:83], s[36:37]
	v_add_f64 v[34:35], v[24:25], v[46:47]
	v_mul_f64 v[24:25], v[86:87], s[42:43]
	v_fma_f64 v[10:11], s[46:47], v[84:85], v[14:15]
	v_fmac_f64_e32 v[14:15], s[34:35], v[84:85]
	v_fma_f64 v[38:39], s[14:15], v[80:81], v[24:25]
	v_fma_f64 v[24:25], v[80:81], s[14:15], -v[24:25]
	v_add_f64 v[2:3], v[2:3], v[28:29]
	v_add_f64 v[10:11], v[10:11], v[42:43]
	;; [unrolled: 1-line block ×3, first 2 shown]
	v_mul_f64 v[28:29], v[82:83], s[20:21]
	v_mul_f64 v[36:37], v[82:83], s[30:31]
	v_add_f64 v[42:43], v[24:25], v[54:55]
	v_mul_f64 v[24:25], v[86:87], s[16:17]
	v_add_f64 v[8:9], v[8:9], v[32:33]
	v_fma_f64 v[18:19], s[18:19], v[84:85], v[28:29]
	v_fma_f64 v[32:33], s[54:55], v[84:85], v[36:37]
	;; [unrolled: 1-line block ×3, first 2 shown]
	v_fma_f64 v[24:25], v[80:81], s[22:23], -v[24:25]
	v_add_f64 v[18:19], v[18:19], v[50:51]
	v_fmac_f64_e32 v[28:29], s[50:51], v[84:85]
	v_add_f64 v[32:33], v[32:33], v[58:59]
	v_fmac_f64_e32 v[36:37], s[28:29], v[84:85]
	v_add_f64 v[50:51], v[24:25], v[62:63]
	v_mul_f64 v[24:25], v[86:87], s[56:57]
	v_mul_f64 v[58:59], v[82:83], s[10:11]
	v_add_f64 v[28:29], v[28:29], v[44:45]
	v_add_f64 v[36:37], v[36:37], v[52:53]
	;; [unrolled: 1-line block ×3, first 2 shown]
	v_mul_f64 v[44:45], v[82:83], s[14:15]
	v_mul_f64 v[52:53], v[82:83], s[22:23]
	v_fma_f64 v[54:55], s[10:11], v[80:81], v[24:25]
	v_fma_f64 v[56:57], s[8:9], v[84:85], v[58:59]
	v_fma_f64 v[24:25], v[80:81], s[10:11], -v[24:25]
	v_fmac_f64_e32 v[58:59], s[56:57], v[84:85]
	v_add_f64 v[16:17], v[16:17], v[40:41]
	v_add_f64 v[30:31], v[30:31], v[48:49]
	v_fma_f64 v[40:41], s[12:13], v[84:85], v[44:45]
	v_fmac_f64_e32 v[44:45], s[42:43], v[84:85]
	v_fma_f64 v[48:49], s[38:39], v[84:85], v[52:53]
	v_fmac_f64_e32 v[52:53], s[16:17], v[84:85]
	v_add_f64 v[220:221], v[24:25], v[76:77]
	v_add_f64 v[222:223], v[58:59], v[78:79]
	;; [unrolled: 1-line block ×9, first 2 shown]
	s_barrier
	ds_write_b128 v23, v[216:219]
	ds_write_b128 v23, v[0:3] offset:16
	ds_write_b128 v23, v[4:7] offset:32
	ds_write_b128 v23, v[8:11] offset:48
	ds_write_b128 v23, v[16:19] offset:64
	ds_write_b128 v23, v[30:33] offset:80
	ds_write_b128 v23, v[38:41] offset:96
	ds_write_b128 v23, v[46:49] offset:112
	ds_write_b128 v23, v[54:57] offset:128
	ds_write_b128 v23, v[220:223] offset:144
	ds_write_b128 v23, v[50:53] offset:160
	ds_write_b128 v23, v[42:45] offset:176
	ds_write_b128 v23, v[34:37] offset:192
	ds_write_b128 v23, v[26:29] offset:208
	ds_write_b128 v23, v[12:15] offset:224
	ds_write_b128 v23, v[208:211] offset:240
	ds_write_b128 v23, v[212:215] offset:256
	s_waitcnt lgkmcnt(0)
	s_barrier
	ds_read_b128 v[224:227], v20
	ds_read_b128 v[220:223], v20 offset:1360
	ds_read_b128 v[8:11], v20 offset:9248
	;; [unrolled: 1-line block ×14, first 2 shown]
	s_and_saveexec_b64 s[0:1], vcc
	s_cbranch_execz .LBB0_7
; %bb.6:
	ds_read_b128 v[208:211], v20 offset:4080
	ds_read_b128 v[212:215], v20 offset:8704
	;; [unrolled: 1-line block ×5, first 2 shown]
.LBB0_7:
	s_or_b64 exec, exec, s[0:1]
	s_waitcnt lgkmcnt(8)
	v_mul_f64 v[24:25], v[98:99], v[18:19]
	v_fmac_f64_e32 v[24:25], v[96:97], v[16:17]
	v_mul_f64 v[16:17], v[98:99], v[16:17]
	v_fma_f64 v[26:27], v[96:97], v[18:19], -v[16:17]
	v_accvgpr_read_b32 v16, a92
	v_mul_f64 v[28:29], v[94:95], v[10:11]
	v_accvgpr_read_b32 v18, a94
	v_accvgpr_read_b32 v19, a95
	v_fmac_f64_e32 v[28:29], v[92:93], v[8:9]
	v_mul_f64 v[8:9], v[94:95], v[8:9]
	v_accvgpr_read_b32 v17, a93
	s_waitcnt lgkmcnt(4)
	v_mul_f64 v[32:33], v[18:19], v[14:15]
	v_fma_f64 v[30:31], v[92:93], v[10:11], -v[8:9]
	v_fmac_f64_e32 v[32:33], v[16:17], v[12:13]
	v_mul_f64 v[8:9], v[18:19], v[12:13]
	v_accvgpr_read_b32 v10, a88
	v_accvgpr_read_b32 v12, a90
	;; [unrolled: 1-line block ×3, first 2 shown]
	s_waitcnt lgkmcnt(0)
	v_mul_f64 v[18:19], v[118:119], v[2:3]
	v_fma_f64 v[34:35], v[16:17], v[14:15], -v[8:9]
	v_accvgpr_read_b32 v11, a89
	v_mul_f64 v[36:37], v[12:13], v[250:251]
	v_mul_f64 v[8:9], v[12:13], v[248:249]
	v_fmac_f64_e32 v[18:19], v[116:117], v[0:1]
	v_mul_f64 v[0:1], v[118:119], v[0:1]
	v_fmac_f64_e32 v[36:37], v[10:11], v[248:249]
	v_fma_f64 v[38:39], v[10:11], v[250:251], -v[8:9]
	v_fma_f64 v[10:11], v[116:117], v[2:3], -v[0:1]
	v_add_f64 v[0:1], v[224:225], v[24:25]
	v_add_f64 v[0:1], v[0:1], v[28:29]
	;; [unrolled: 1-line block ×5, first 2 shown]
	s_mov_b32 s0, 0x134454ff
	v_fma_f64 v[84:85], -0.5, v[0:1], v[224:225]
	v_add_f64 v[2:3], v[26:27], -v[38:39]
	s_mov_b32 s1, 0xbfee6f0e
	s_mov_b32 s8, 0x4755a5e
	s_mov_b32 s13, 0x3fee6f0e
	s_mov_b32 s12, s0
	v_fma_f64 v[92:93], s[0:1], v[2:3], v[84:85]
	v_add_f64 v[56:57], v[30:31], -v[34:35]
	s_mov_b32 s9, 0xbfe2cf23
	v_add_f64 v[0:1], v[24:25], -v[28:29]
	v_add_f64 v[58:59], v[36:37], -v[32:33]
	s_mov_b32 s10, 0x372fe950
	v_fmac_f64_e32 v[84:85], s[12:13], v[2:3]
	s_mov_b32 s15, 0x3fe2cf23
	s_mov_b32 s14, s8
	v_fmac_f64_e32 v[92:93], s[8:9], v[56:57]
	v_add_f64 v[0:1], v[0:1], v[58:59]
	s_mov_b32 s11, 0x3fd3c6ef
	v_fmac_f64_e32 v[84:85], s[14:15], v[56:57]
	v_fmac_f64_e32 v[92:93], s[10:11], v[0:1]
	;; [unrolled: 1-line block ×3, first 2 shown]
	v_add_f64 v[0:1], v[24:25], v[36:37]
	v_fmac_f64_e32 v[224:225], -0.5, v[0:1]
	v_fma_f64 v[0:1], s[12:13], v[56:57], v[224:225]
	v_fmac_f64_e32 v[224:225], s[0:1], v[56:57]
	v_fmac_f64_e32 v[0:1], s[8:9], v[2:3]
	;; [unrolled: 1-line block ×3, first 2 shown]
	v_add_f64 v[2:3], v[226:227], v[26:27]
	v_add_f64 v[2:3], v[2:3], v[30:31]
	v_add_f64 v[2:3], v[2:3], v[34:35]
	v_add_f64 v[90:91], v[2:3], v[38:39]
	v_add_f64 v[2:3], v[30:31], v[34:35]
	v_add_f64 v[58:59], v[28:29], -v[24:25]
	v_fma_f64 v[86:87], -0.5, v[2:3], v[226:227]
	v_add_f64 v[24:25], v[24:25], -v[36:37]
	v_add_f64 v[60:61], v[32:33], -v[36:37]
	v_fma_f64 v[94:95], s[12:13], v[24:25], v[86:87]
	v_add_f64 v[28:29], v[28:29], -v[32:33]
	v_add_f64 v[2:3], v[26:27], -v[30:31]
	;; [unrolled: 1-line block ×3, first 2 shown]
	v_fmac_f64_e32 v[86:87], s[0:1], v[24:25]
	v_fmac_f64_e32 v[94:95], s[14:15], v[28:29]
	v_add_f64 v[2:3], v[2:3], v[32:33]
	v_fmac_f64_e32 v[86:87], s[8:9], v[28:29]
	v_fmac_f64_e32 v[94:95], s[10:11], v[2:3]
	;; [unrolled: 1-line block ×3, first 2 shown]
	v_add_f64 v[2:3], v[26:27], v[38:39]
	v_mul_f64 v[40:41], v[114:115], v[254:255]
	v_fmac_f64_e32 v[226:227], -0.5, v[2:3]
	v_fmac_f64_e32 v[40:41], v[112:113], v[252:253]
	v_mul_f64 v[8:9], v[114:115], v[252:253]
	v_mul_f64 v[44:45], v[110:111], v[242:243]
	v_fma_f64 v[2:3], s[0:1], v[28:29], v[226:227]
	v_fmac_f64_e32 v[226:227], s[12:13], v[28:29]
	v_fma_f64 v[42:43], v[112:113], v[254:255], -v[8:9]
	v_fmac_f64_e32 v[44:45], v[108:109], v[240:241]
	v_mul_f64 v[8:9], v[110:111], v[240:241]
	v_mul_f64 v[48:49], v[106:107], v[246:247]
	v_fmac_f64_e32 v[2:3], s[14:15], v[24:25]
	v_fmac_f64_e32 v[226:227], s[8:9], v[24:25]
	v_add_f64 v[24:25], v[220:221], v[40:41]
	v_fma_f64 v[46:47], v[108:109], v[242:243], -v[8:9]
	v_fmac_f64_e32 v[48:49], v[104:105], v[244:245]
	v_mul_f64 v[8:9], v[106:107], v[244:245]
	v_mul_f64 v[52:53], v[102:103], v[238:239]
	v_add_f64 v[26:27], v[30:31], -v[26:27]
	v_add_f64 v[30:31], v[34:35], -v[38:39]
	v_add_f64 v[24:25], v[24:25], v[44:45]
	v_fma_f64 v[50:51], v[104:105], v[246:247], -v[8:9]
	v_fmac_f64_e32 v[52:53], v[100:101], v[236:237]
	v_mul_f64 v[8:9], v[102:103], v[236:237]
	v_add_f64 v[26:27], v[26:27], v[30:31]
	v_add_f64 v[24:25], v[24:25], v[48:49]
	v_fma_f64 v[54:55], v[100:101], v[238:239], -v[8:9]
	v_fmac_f64_e32 v[2:3], s[10:11], v[26:27]
	v_fmac_f64_e32 v[226:227], s[10:11], v[26:27]
	v_add_f64 v[26:27], v[24:25], v[52:53]
	v_add_f64 v[24:25], v[44:45], v[48:49]
	v_fma_f64 v[30:31], -0.5, v[24:25], v[220:221]
	v_add_f64 v[24:25], v[42:43], -v[54:55]
	v_fma_f64 v[34:35], s[0:1], v[24:25], v[30:31]
	v_add_f64 v[28:29], v[46:47], -v[50:51]
	v_add_f64 v[32:33], v[40:41], -v[44:45]
	;; [unrolled: 1-line block ×3, first 2 shown]
	v_fmac_f64_e32 v[30:31], s[12:13], v[24:25]
	v_fmac_f64_e32 v[34:35], s[8:9], v[28:29]
	v_add_f64 v[32:33], v[32:33], v[36:37]
	v_fmac_f64_e32 v[30:31], s[14:15], v[28:29]
	v_fmac_f64_e32 v[34:35], s[10:11], v[32:33]
	v_fmac_f64_e32 v[30:31], s[10:11], v[32:33]
	v_add_f64 v[32:33], v[40:41], v[52:53]
	v_fmac_f64_e32 v[220:221], -0.5, v[32:33]
	v_fma_f64 v[38:39], s[12:13], v[28:29], v[220:221]
	v_fmac_f64_e32 v[220:221], s[0:1], v[28:29]
	v_fmac_f64_e32 v[38:39], s[8:9], v[24:25]
	;; [unrolled: 1-line block ×3, first 2 shown]
	v_add_f64 v[24:25], v[222:223], v[42:43]
	v_add_f64 v[24:25], v[24:25], v[46:47]
	v_add_f64 v[32:33], v[44:45], -v[40:41]
	v_add_f64 v[36:37], v[48:49], -v[52:53]
	v_add_f64 v[24:25], v[24:25], v[50:51]
	v_add_f64 v[32:33], v[32:33], v[36:37]
	;; [unrolled: 1-line block ×4, first 2 shown]
	v_fmac_f64_e32 v[38:39], s[10:11], v[32:33]
	v_fmac_f64_e32 v[220:221], s[10:11], v[32:33]
	v_fma_f64 v[32:33], -0.5, v[24:25], v[222:223]
	v_add_f64 v[24:25], v[40:41], -v[52:53]
	v_fma_f64 v[36:37], s[12:13], v[24:25], v[32:33]
	v_add_f64 v[44:45], v[44:45], -v[48:49]
	v_add_f64 v[40:41], v[42:43], -v[46:47]
	;; [unrolled: 1-line block ×3, first 2 shown]
	v_fmac_f64_e32 v[32:33], s[0:1], v[24:25]
	v_fmac_f64_e32 v[36:37], s[14:15], v[44:45]
	v_add_f64 v[40:41], v[40:41], v[48:49]
	v_fmac_f64_e32 v[32:33], s[8:9], v[44:45]
	v_fmac_f64_e32 v[36:37], s[10:11], v[40:41]
	;; [unrolled: 1-line block ×3, first 2 shown]
	v_add_f64 v[40:41], v[42:43], v[54:55]
	v_mul_f64 v[12:13], v[130:131], v[6:7]
	v_fmac_f64_e32 v[222:223], -0.5, v[40:41]
	v_fmac_f64_e32 v[12:13], v[128:129], v[4:5]
	v_mul_f64 v[14:15], v[126:127], v[234:235]
	v_fma_f64 v[40:41], s[0:1], v[44:45], v[222:223]
	v_fmac_f64_e32 v[222:223], s[12:13], v[44:45]
	v_fmac_f64_e32 v[14:15], v[124:125], v[232:233]
	v_mul_f64 v[16:17], v[122:123], v[230:231]
	v_fmac_f64_e32 v[40:41], s[14:15], v[24:25]
	v_fmac_f64_e32 v[222:223], s[8:9], v[24:25]
	v_add_f64 v[24:25], v[216:217], v[12:13]
	v_fmac_f64_e32 v[16:17], v[120:121], v[228:229]
	v_add_f64 v[42:43], v[46:47], -v[42:43]
	v_add_f64 v[46:47], v[50:51], -v[54:55]
	v_add_f64 v[24:25], v[24:25], v[14:15]
	v_mul_f64 v[4:5], v[130:131], v[4:5]
	v_add_f64 v[42:43], v[42:43], v[46:47]
	v_add_f64 v[24:25], v[24:25], v[16:17]
	v_fma_f64 v[4:5], v[128:129], v[6:7], -v[4:5]
	v_mul_f64 v[6:7], v[126:127], v[232:233]
	v_mul_f64 v[8:9], v[122:123], v[228:229]
	v_fmac_f64_e32 v[40:41], s[10:11], v[42:43]
	v_fmac_f64_e32 v[222:223], s[10:11], v[42:43]
	v_add_f64 v[42:43], v[24:25], v[18:19]
	v_add_f64 v[24:25], v[14:15], v[16:17]
	v_fma_f64 v[6:7], v[124:125], v[234:235], -v[6:7]
	v_fma_f64 v[8:9], v[120:121], v[230:231], -v[8:9]
	v_fma_f64 v[46:47], -0.5, v[24:25], v[216:217]
	v_add_f64 v[24:25], v[4:5], -v[10:11]
	v_fma_f64 v[50:51], s[0:1], v[24:25], v[46:47]
	v_add_f64 v[44:45], v[6:7], -v[8:9]
	v_add_f64 v[48:49], v[12:13], -v[14:15]
	;; [unrolled: 1-line block ×3, first 2 shown]
	v_fmac_f64_e32 v[46:47], s[12:13], v[24:25]
	v_fmac_f64_e32 v[50:51], s[8:9], v[44:45]
	v_add_f64 v[48:49], v[48:49], v[52:53]
	v_fmac_f64_e32 v[46:47], s[14:15], v[44:45]
	v_fmac_f64_e32 v[50:51], s[10:11], v[48:49]
	;; [unrolled: 1-line block ×3, first 2 shown]
	v_add_f64 v[48:49], v[12:13], v[18:19]
	v_fmac_f64_e32 v[216:217], -0.5, v[48:49]
	v_fma_f64 v[54:55], s[12:13], v[44:45], v[216:217]
	v_fmac_f64_e32 v[216:217], s[0:1], v[44:45]
	v_fmac_f64_e32 v[54:55], s[8:9], v[24:25]
	;; [unrolled: 1-line block ×3, first 2 shown]
	v_add_f64 v[24:25], v[218:219], v[4:5]
	v_add_f64 v[24:25], v[24:25], v[6:7]
	v_add_f64 v[48:49], v[14:15], -v[12:13]
	v_add_f64 v[52:53], v[16:17], -v[18:19]
	v_add_f64 v[24:25], v[24:25], v[8:9]
	v_add_f64 v[48:49], v[48:49], v[52:53]
	;; [unrolled: 1-line block ×4, first 2 shown]
	v_fmac_f64_e32 v[54:55], s[10:11], v[48:49]
	v_fmac_f64_e32 v[216:217], s[10:11], v[48:49]
	v_fma_f64 v[48:49], -0.5, v[24:25], v[218:219]
	v_add_f64 v[12:13], v[12:13], -v[18:19]
	v_fma_f64 v[52:53], s[12:13], v[12:13], v[48:49]
	v_add_f64 v[14:15], v[14:15], -v[16:17]
	v_add_f64 v[16:17], v[4:5], -v[6:7]
	;; [unrolled: 1-line block ×3, first 2 shown]
	v_fmac_f64_e32 v[48:49], s[0:1], v[12:13]
	v_fmac_f64_e32 v[52:53], s[14:15], v[14:15]
	v_add_f64 v[16:17], v[16:17], v[18:19]
	v_fmac_f64_e32 v[48:49], s[8:9], v[14:15]
	v_fmac_f64_e32 v[52:53], s[10:11], v[16:17]
	;; [unrolled: 1-line block ×3, first 2 shown]
	v_add_f64 v[16:17], v[4:5], v[10:11]
	v_fmac_f64_e32 v[218:219], -0.5, v[16:17]
	v_fma_f64 v[56:57], s[0:1], v[14:15], v[218:219]
	v_add_f64 v[4:5], v[6:7], -v[4:5]
	v_add_f64 v[6:7], v[8:9], -v[10:11]
	v_fmac_f64_e32 v[218:219], s[12:13], v[14:15]
	v_add_f64 v[58:59], v[58:59], v[60:61]
	v_fmac_f64_e32 v[56:57], s[14:15], v[12:13]
	v_add_f64 v[4:5], v[4:5], v[6:7]
	v_fmac_f64_e32 v[218:219], s[8:9], v[12:13]
	v_fmac_f64_e32 v[0:1], s[10:11], v[58:59]
	v_fmac_f64_e32 v[56:57], s[10:11], v[4:5]
	v_fmac_f64_e32 v[218:219], s[10:11], v[4:5]
	v_accvgpr_read_b32 v4, a96
	v_fmac_f64_e32 v[224:225], s[10:11], v[58:59]
	s_barrier
	ds_write_b128 v4, v[88:91]
	ds_write_b128 v4, v[92:95] offset:272
	ds_write_b128 v4, v[0:3] offset:544
	;; [unrolled: 1-line block ×4, first 2 shown]
	ds_write_b128 v22, v[26:29]
	ds_write_b128 v22, v[34:37] offset:272
	ds_write_b128 v22, v[38:41] offset:544
	ds_write_b128 v22, v[220:223] offset:816
	ds_write_b128 v22, v[30:33] offset:1088
	v_accvgpr_read_b32 v0, a97
	ds_write_b128 v0, v[42:45]
	ds_write_b128 v0, v[50:53] offset:272
	ds_write_b128 v0, v[54:57] offset:544
	;; [unrolled: 1-line block ×4, first 2 shown]
	s_and_saveexec_b64 s[16:17], vcc
	s_cbranch_execz .LBB0_9
; %bb.8:
	v_accvgpr_read_b32 v14, a80
	v_accvgpr_read_b32 v24, a76
	;; [unrolled: 1-line block ×9, first 2 shown]
	v_mul_f64 v[0:1], v[16:17], v[132:133]
	v_accvgpr_read_b32 v34, a86
	v_accvgpr_read_b32 v35, a87
	;; [unrolled: 1-line block ×3, first 2 shown]
	v_mul_f64 v[6:7], v[26:27], v[140:141]
	v_accvgpr_read_b32 v30, a74
	v_accvgpr_read_b32 v31, a75
	v_fma_f64 v[4:5], v[14:15], v[134:135], -v[0:1]
	v_accvgpr_read_b32 v33, a85
	v_mul_f64 v[0:1], v[34:35], v[212:213]
	v_fma_f64 v[8:9], v[24:25], v[142:143], -v[6:7]
	v_accvgpr_read_b32 v29, a73
	v_mul_f64 v[6:7], v[30:31], v[136:137]
	v_fma_f64 v[0:1], v[32:33], v[214:215], -v[0:1]
	v_fma_f64 v[12:13], v[28:29], v[138:139], -v[6:7]
	v_add_f64 v[2:3], v[4:5], -v[0:1]
	v_add_f64 v[6:7], v[8:9], -v[12:13]
	v_mul_f64 v[16:17], v[16:17], v[134:135]
	v_mul_f64 v[22:23], v[26:27], v[142:143]
	v_add_f64 v[10:11], v[2:3], v[6:7]
	v_fmac_f64_e32 v[16:17], v[14:15], v[132:133]
	v_fmac_f64_e32 v[22:23], v[24:25], v[140:141]
	v_add_f64 v[2:3], v[0:1], v[12:13]
	v_mul_f64 v[24:25], v[34:35], v[214:215]
	v_mul_f64 v[26:27], v[30:31], v[138:139]
	v_add_f64 v[18:19], v[16:17], -v[22:23]
	v_fma_f64 v[2:3], -0.5, v[2:3], v[210:211]
	v_fmac_f64_e32 v[24:25], v[32:33], v[212:213]
	v_fmac_f64_e32 v[26:27], v[28:29], v[136:137]
	v_fma_f64 v[6:7], s[12:13], v[18:19], v[2:3]
	v_add_f64 v[28:29], v[24:25], -v[26:27]
	v_fmac_f64_e32 v[2:3], s[0:1], v[18:19]
	v_fmac_f64_e32 v[6:7], s[8:9], v[28:29]
	;; [unrolled: 1-line block ×5, first 2 shown]
	v_add_f64 v[10:11], v[0:1], -v[4:5]
	v_add_f64 v[14:15], v[12:13], -v[8:9]
	v_add_f64 v[30:31], v[10:11], v[14:15]
	v_add_f64 v[10:11], v[4:5], v[8:9]
	v_fma_f64 v[10:11], -0.5, v[10:11], v[210:211]
	v_fma_f64 v[14:15], s[0:1], v[28:29], v[10:11]
	v_fmac_f64_e32 v[10:11], s[12:13], v[28:29]
	v_fmac_f64_e32 v[14:15], s[8:9], v[18:19]
	v_fmac_f64_e32 v[10:11], s[14:15], v[18:19]
	v_fmac_f64_e32 v[14:15], s[10:11], v[30:31]
	v_fmac_f64_e32 v[10:11], s[10:11], v[30:31]
	v_add_f64 v[28:29], v[16:17], -v[24:25]
	v_add_f64 v[30:31], v[22:23], -v[26:27]
	v_add_f64 v[18:19], v[210:211], v[0:1]
	v_add_f64 v[28:29], v[28:29], v[30:31]
	v_add_f64 v[30:31], v[0:1], -v[12:13]
	v_add_f64 v[0:1], v[24:25], v[26:27]
	v_add_f64 v[18:19], v[18:19], v[4:5]
	v_fma_f64 v[0:1], -0.5, v[0:1], v[208:209]
	v_add_f64 v[32:33], v[4:5], -v[8:9]
	v_add_f64 v[18:19], v[18:19], v[8:9]
	v_fma_f64 v[4:5], s[0:1], v[32:33], v[0:1]
	v_fmac_f64_e32 v[0:1], s[12:13], v[32:33]
	v_add_f64 v[18:19], v[18:19], v[12:13]
	v_fmac_f64_e32 v[4:5], s[14:15], v[30:31]
	v_fmac_f64_e32 v[0:1], s[8:9], v[30:31]
	v_add_f64 v[8:9], v[24:25], -v[16:17]
	v_add_f64 v[12:13], v[26:27], -v[22:23]
	v_fmac_f64_e32 v[4:5], s[10:11], v[28:29]
	v_fmac_f64_e32 v[0:1], s[10:11], v[28:29]
	v_add_f64 v[28:29], v[8:9], v[12:13]
	v_add_f64 v[8:9], v[16:17], v[22:23]
	v_add_f64 v[24:25], v[208:209], v[24:25]
	v_fma_f64 v[8:9], -0.5, v[8:9], v[208:209]
	v_add_f64 v[16:17], v[24:25], v[16:17]
	v_fma_f64 v[12:13], s[12:13], v[30:31], v[8:9]
	v_fmac_f64_e32 v[8:9], s[0:1], v[30:31]
	v_add_f64 v[16:17], v[16:17], v[22:23]
	s_movk_i32 s0, 0x55
	v_accvgpr_read_b32 v21, a1
	v_accvgpr_read_b32 v22, a3
	v_mad_legacy_u16 v21, v21, s0, v22
	v_fmac_f64_e32 v[12:13], s[14:15], v[32:33]
	v_fmac_f64_e32 v[8:9], s[8:9], v[32:33]
	v_add_f64 v[16:17], v[16:17], v[26:27]
	v_lshlrev_b32_e32 v21, 4, v21
	v_fmac_f64_e32 v[12:13], s[10:11], v[28:29]
	v_fmac_f64_e32 v[8:9], s[10:11], v[28:29]
	ds_write_b128 v21, v[16:19]
	ds_write_b128 v21, v[8:11] offset:272
	ds_write_b128 v21, v[0:3] offset:544
	;; [unrolled: 1-line block ×4, first 2 shown]
.LBB0_9:
	s_or_b64 exec, exec, s[16:17]
	s_waitcnt lgkmcnt(0)
	s_barrier
	ds_read_b128 v[72:75], v20
	ds_read_b128 v[6:9], v20 offset:1360
	ds_read_b128 v[10:13], v20 offset:2720
	ds_read_b128 v[14:17], v20 offset:4080
	ds_read_b128 v[22:25], v20 offset:5440
	ds_read_b128 v[26:29], v20 offset:6800
	ds_read_b128 v[30:33], v20 offset:8160
	ds_read_b128 v[34:37], v20 offset:9520
	ds_read_b128 v[38:41], v20 offset:10880
	ds_read_b128 v[42:45], v20 offset:12240
	ds_read_b128 v[46:49], v20 offset:13600
	ds_read_b128 v[50:53], v20 offset:14960
	ds_read_b128 v[54:57], v20 offset:16320
	ds_read_b128 v[68:71], v20 offset:17680
	ds_read_b128 v[114:117], v20 offset:19040
	ds_read_b128 v[118:121], v20 offset:20400
	ds_read_b128 v[122:125], v20 offset:21760
	s_waitcnt lgkmcnt(14)
	v_mul_f64 v[58:59], v[158:159], v[8:9]
	v_fmac_f64_e32 v[58:59], v[156:157], v[6:7]
	v_mul_f64 v[6:7], v[158:159], v[6:7]
	v_fma_f64 v[60:61], v[156:157], v[8:9], -v[6:7]
	v_mul_f64 v[6:7], v[154:155], v[10:11]
	v_fma_f64 v[112:113], v[152:153], v[12:13], -v[6:7]
	s_waitcnt lgkmcnt(13)
	v_mul_f64 v[6:7], v[150:151], v[14:15]
	v_fma_f64 v[104:105], v[148:149], v[16:17], -v[6:7]
	s_waitcnt lgkmcnt(12)
	;; [unrolled: 3-line block ×4, first 2 shown]
	v_mul_f64 v[6:7], v[170:171], v[30:31]
	v_mul_f64 v[110:111], v[154:155], v[12:13]
	;; [unrolled: 1-line block ×3, first 2 shown]
	v_fma_f64 v[80:81], v[168:169], v[32:33], -v[6:7]
	v_add_f64 v[32:33], v[74:75], v[60:61]
	v_fmac_f64_e32 v[110:111], v[152:153], v[10:11]
	v_mul_f64 v[102:103], v[150:151], v[16:17]
	v_fmac_f64_e32 v[78:79], v[168:169], v[30:31]
	v_add_f64 v[30:31], v[72:73], v[58:59]
	v_add_f64 v[32:33], v[32:33], v[112:113]
	v_fmac_f64_e32 v[102:103], v[148:149], v[14:15]
	v_mul_f64 v[94:95], v[146:147], v[24:25]
	v_add_f64 v[30:31], v[30:31], v[110:111]
	v_add_f64 v[32:33], v[32:33], v[104:105]
	v_fmac_f64_e32 v[94:95], v[144:145], v[22:23]
	v_mul_f64 v[86:87], v[174:175], v[28:29]
	v_add_f64 v[30:31], v[30:31], v[102:103]
	v_add_f64 v[32:33], v[32:33], v[96:97]
	v_fmac_f64_e32 v[86:87], v[172:173], v[26:27]
	s_waitcnt lgkmcnt(9)
	v_mul_f64 v[6:7], v[166:167], v[34:35]
	v_add_f64 v[30:31], v[30:31], v[94:95]
	v_add_f64 v[32:33], v[32:33], v[88:89]
	v_mul_f64 v[14:15], v[166:167], v[36:37]
	v_fma_f64 v[16:17], v[164:165], v[36:37], -v[6:7]
	s_waitcnt lgkmcnt(8)
	v_mul_f64 v[8:9], v[162:163], v[38:39]
	v_add_f64 v[30:31], v[30:31], v[86:87]
	v_add_f64 v[32:33], v[32:33], v[80:81]
	v_fmac_f64_e32 v[14:15], v[164:165], v[34:35]
	v_mul_f64 v[6:7], v[162:163], v[40:41]
	v_fma_f64 v[8:9], v[160:161], v[40:41], -v[8:9]
	s_waitcnt lgkmcnt(7)
	v_mul_f64 v[12:13], v[190:191], v[42:43]
	v_add_f64 v[30:31], v[30:31], v[78:79]
	v_add_f64 v[32:33], v[32:33], v[16:17]
	v_fmac_f64_e32 v[6:7], v[160:161], v[38:39]
	;; [unrolled: 7-line block ×7, first 2 shown]
	v_mul_f64 v[106:107], v[202:203], v[116:117]
	v_fma_f64 v[108:109], v[200:201], v[116:117], -v[22:23]
	s_waitcnt lgkmcnt(1)
	v_mul_f64 v[24:25], v[198:199], v[118:119]
	v_add_f64 v[30:31], v[30:31], v[90:91]
	v_add_f64 v[32:33], v[32:33], v[100:101]
	v_accvgpr_read_b32 v140, a2
	v_fmac_f64_e32 v[106:107], v[200:201], v[114:115]
	v_mul_f64 v[22:23], v[198:199], v[120:121]
	v_fma_f64 v[24:25], v[196:197], v[120:121], -v[24:25]
	s_waitcnt lgkmcnt(0)
	v_mul_f64 v[28:29], v[194:195], v[122:123]
	v_add_f64 v[30:31], v[30:31], v[98:99]
	v_add_f64 v[32:33], v[32:33], v[108:109]
	v_mov_b32_e32 v0, s2
	v_mov_b32_e32 v1, s3
	v_mad_u64_u32 v[2:3], s[0:1], s6, v140, 0
	v_fmac_f64_e32 v[22:23], v[196:197], v[118:119]
	v_mul_f64 v[26:27], v[194:195], v[124:125]
	v_fma_f64 v[28:29], v[192:193], v[124:125], -v[28:29]
	v_add_f64 v[30:31], v[30:31], v[106:107]
	v_add_f64 v[32:33], v[32:33], v[24:25]
	s_mov_b32 s18, 0x75d4884
	s_mov_b32 s12, 0x2b2883cd
	;; [unrolled: 1-line block ×7, first 2 shown]
	v_fmac_f64_e32 v[26:27], v[192:193], v[122:123]
	v_add_f64 v[30:31], v[30:31], v[22:23]
	v_add_f64 v[70:71], v[32:33], v[28:29]
	;; [unrolled: 1-line block ×3, first 2 shown]
	s_mov_b32 s16, 0x2a9d6da3
	s_mov_b32 s19, 0x3fe7a5f6
	;; [unrolled: 1-line block ×14, first 2 shown]
	v_add_f64 v[68:69], v[30:31], v[26:27]
	v_add_f64 v[30:31], v[58:59], v[26:27]
	v_add_f64 v[26:27], v[58:59], -v[26:27]
	v_add_f64 v[28:29], v[60:61], -v[28:29]
	v_mul_f64 v[38:39], v[32:33], s[26:27]
	s_mov_b32 s17, 0xbfe58eea
	v_mul_f64 v[46:47], v[32:33], s[18:19]
	s_mov_b32 s11, 0xbfeca52d
	;; [unrolled: 2-line block ×9, first 2 shown]
	s_mov_b32 s30, s24
	v_mul_f64 v[42:43], v[28:29], s[16:17]
	s_mov_b32 s21, 0x3fe58eea
	s_mov_b32 s20, s16
	v_mul_f64 v[50:51], v[28:29], s[10:11]
	s_mov_b32 s15, 0x3feca52d
	s_mov_b32 s14, s10
	v_mul_f64 v[58:59], v[28:29], s[0:1]
	s_mov_b32 s9, 0x3fefdd0d
	s_mov_b32 s8, s0
	v_mul_f64 v[66:67], v[28:29], s[22:23]
	s_mov_b32 s35, 0x3feec746
	s_mov_b32 s34, s22
	v_mul_f64 v[120:121], v[28:29], s[36:37]
	s_mov_b32 s41, 0x3fe9895b
	s_mov_b32 s40, s36
	v_mul_f64 v[128:129], v[28:29], s[42:43]
	s_mov_b32 s46, s42
	v_mul_f64 v[28:29], v[28:29], s[48:49]
	v_fma_f64 v[138:139], s[52:53], v[26:27], v[32:33]
	v_fmac_f64_e32 v[32:33], s[48:49], v[26:27]
	v_fma_f64 v[36:37], s[26:27], v[30:31], v[34:35]
	v_fma_f64 v[40:41], s[30:31], v[26:27], v[38:39]
	v_fma_f64 v[34:35], v[30:31], s[26:27], -v[34:35]
	v_fmac_f64_e32 v[38:39], s[24:25], v[26:27]
	v_fma_f64 v[44:45], s[18:19], v[30:31], v[42:43]
	v_fma_f64 v[48:49], s[20:21], v[26:27], v[46:47]
	v_fma_f64 v[42:43], v[30:31], s[18:19], -v[42:43]
	;; [unrolled: 4-line block ×7, first 2 shown]
	v_fmac_f64_e32 v[132:133], s[42:43], v[26:27]
	v_fma_f64 v[136:137], s[50:51], v[30:31], v[28:29]
	v_fma_f64 v[28:29], v[30:31], s[50:51], -v[28:29]
	v_add_f64 v[26:27], v[74:75], v[32:33]
	v_add_f64 v[32:33], v[112:113], v[24:25]
	v_add_f64 v[24:25], v[112:113], -v[24:25]
	v_add_f64 v[36:37], v[72:73], v[36:37]
	v_add_f64 v[34:35], v[72:73], v[34:35]
	v_add_f64 v[44:45], v[72:73], v[44:45]
	v_add_f64 v[42:43], v[72:73], v[42:43]
	v_add_f64 v[52:53], v[72:73], v[52:53]
	v_add_f64 v[50:51], v[72:73], v[50:51]
	v_add_f64 v[60:61], v[72:73], v[60:61]
	v_add_f64 v[58:59], v[72:73], v[58:59]
	v_add_f64 v[114:115], v[72:73], v[114:115]
	v_add_f64 v[66:67], v[72:73], v[66:67]
	v_add_f64 v[122:123], v[72:73], v[122:123]
	v_add_f64 v[120:121], v[72:73], v[120:121]
	v_add_f64 v[130:131], v[72:73], v[130:131]
	v_add_f64 v[128:129], v[72:73], v[128:129]
	v_add_f64 v[136:137], v[72:73], v[136:137]
	v_add_f64 v[28:29], v[72:73], v[28:29]
	v_add_f64 v[30:31], v[110:111], v[22:23]
	v_mul_f64 v[72:73], v[24:25], s[16:17]
	v_add_f64 v[40:41], v[74:75], v[40:41]
	v_add_f64 v[38:39], v[74:75], v[38:39]
	;; [unrolled: 1-line block ×15, first 2 shown]
	v_fma_f64 v[74:75], s[18:19], v[30:31], v[72:73]
	v_add_f64 v[22:23], v[110:111], -v[22:23]
	v_add_f64 v[36:37], v[74:75], v[36:37]
	v_mul_f64 v[74:75], v[32:33], s[18:19]
	v_fma_f64 v[72:73], v[30:31], s[18:19], -v[72:73]
	v_fma_f64 v[110:111], s[20:21], v[22:23], v[74:75]
	v_add_f64 v[34:35], v[72:73], v[34:35]
	v_fmac_f64_e32 v[74:75], s[16:17], v[22:23]
	v_mul_f64 v[72:73], v[24:25], s[0:1]
	v_add_f64 v[38:39], v[74:75], v[38:39]
	v_fma_f64 v[74:75], s[2:3], v[30:31], v[72:73]
	v_add_f64 v[44:45], v[74:75], v[44:45]
	v_mul_f64 v[74:75], v[32:33], s[2:3]
	v_fma_f64 v[72:73], v[30:31], s[2:3], -v[72:73]
	v_add_f64 v[40:41], v[110:111], v[40:41]
	v_fma_f64 v[110:111], s[8:9], v[22:23], v[74:75]
	v_add_f64 v[42:43], v[72:73], v[42:43]
	v_fmac_f64_e32 v[74:75], s[0:1], v[22:23]
	v_mul_f64 v[72:73], v[24:25], s[36:37]
	v_add_f64 v[46:47], v[74:75], v[46:47]
	v_fma_f64 v[74:75], s[38:39], v[30:31], v[72:73]
	v_add_f64 v[52:53], v[74:75], v[52:53]
	v_mul_f64 v[74:75], v[32:33], s[38:39]
	v_fma_f64 v[72:73], v[30:31], s[38:39], -v[72:73]
	v_add_f64 v[48:49], v[110:111], v[48:49]
	v_fma_f64 v[110:111], s[40:41], v[22:23], v[74:75]
	v_add_f64 v[50:51], v[72:73], v[50:51]
	v_fmac_f64_e32 v[74:75], s[36:37], v[22:23]
	v_mul_f64 v[72:73], v[24:25], s[48:49]
	v_add_f64 v[54:55], v[74:75], v[54:55]
	v_fma_f64 v[74:75], s[50:51], v[30:31], v[72:73]
	v_add_f64 v[60:61], v[74:75], v[60:61]
	v_mul_f64 v[74:75], v[32:33], s[50:51]
	v_add_f64 v[56:57], v[110:111], v[56:57]
	v_fma_f64 v[110:111], s[52:53], v[22:23], v[74:75]
	v_fma_f64 v[72:73], v[30:31], s[50:51], -v[72:73]
	v_add_f64 v[64:65], v[110:111], v[64:65]
	v_add_f64 v[58:59], v[72:73], v[58:59]
	v_fmac_f64_e32 v[74:75], s[48:49], v[22:23]
	v_mul_f64 v[72:73], v[24:25], s[46:47]
	v_mul_f64 v[110:111], v[32:33], s[44:45]
	v_add_f64 v[62:63], v[74:75], v[62:63]
	v_fma_f64 v[74:75], s[44:45], v[30:31], v[72:73]
	v_fma_f64 v[112:113], s[42:43], v[22:23], v[110:111]
	v_fma_f64 v[72:73], v[30:31], s[44:45], -v[72:73]
	v_fmac_f64_e32 v[110:111], s[46:47], v[22:23]
	v_add_f64 v[66:67], v[72:73], v[66:67]
	v_add_f64 v[72:73], v[110:111], v[116:117]
	v_mul_f64 v[110:111], v[24:25], s[34:35]
	v_add_f64 v[74:75], v[74:75], v[114:115]
	v_fma_f64 v[114:115], s[28:29], v[30:31], v[110:111]
	v_mul_f64 v[116:117], v[32:33], s[28:29]
	v_fma_f64 v[110:111], v[30:31], s[28:29], -v[110:111]
	v_add_f64 v[112:113], v[112:113], v[118:119]
	v_fma_f64 v[118:119], s[22:23], v[22:23], v[116:117]
	v_add_f64 v[110:111], v[110:111], v[120:121]
	v_fmac_f64_e32 v[116:117], s[34:35], v[22:23]
	v_mul_f64 v[120:121], v[24:25], s[14:15]
	v_add_f64 v[114:115], v[114:115], v[122:123]
	v_add_f64 v[116:117], v[116:117], v[124:125]
	v_fma_f64 v[122:123], s[12:13], v[30:31], v[120:121]
	v_mul_f64 v[124:125], v[32:33], s[12:13]
	v_mul_f64 v[32:33], v[32:33], s[26:27]
	v_add_f64 v[122:123], v[122:123], v[130:131]
	v_fma_f64 v[130:131], s[24:25], v[22:23], v[32:33]
	v_fmac_f64_e32 v[32:33], s[30:31], v[22:23]
	v_add_f64 v[118:119], v[118:119], v[126:127]
	v_fma_f64 v[126:127], s[10:11], v[22:23], v[124:125]
	v_fma_f64 v[120:121], v[30:31], s[12:13], -v[120:121]
	v_fmac_f64_e32 v[124:125], s[14:15], v[22:23]
	v_mul_f64 v[24:25], v[24:25], s[30:31]
	v_add_f64 v[22:23], v[32:33], v[26:27]
	v_add_f64 v[32:33], v[104:105], -v[108:109]
	v_add_f64 v[120:121], v[120:121], v[128:129]
	v_fma_f64 v[128:129], s[26:27], v[30:31], v[24:25]
	v_fma_f64 v[24:25], v[30:31], s[26:27], -v[24:25]
	v_add_f64 v[26:27], v[102:103], v[106:107]
	v_add_f64 v[30:31], v[102:103], -v[106:107]
	v_mul_f64 v[102:103], v[32:33], s[10:11]
	v_add_f64 v[24:25], v[24:25], v[28:29]
	v_add_f64 v[28:29], v[104:105], v[108:109]
	v_fma_f64 v[104:105], s[12:13], v[26:27], v[102:103]
	v_add_f64 v[36:37], v[104:105], v[36:37]
	v_mul_f64 v[104:105], v[28:29], s[12:13]
	v_fma_f64 v[102:103], v[26:27], s[12:13], -v[102:103]
	v_fma_f64 v[106:107], s[14:15], v[30:31], v[104:105]
	v_add_f64 v[34:35], v[102:103], v[34:35]
	v_fmac_f64_e32 v[104:105], s[10:11], v[30:31]
	v_mul_f64 v[102:103], v[32:33], s[36:37]
	v_add_f64 v[38:39], v[104:105], v[38:39]
	v_fma_f64 v[104:105], s[38:39], v[26:27], v[102:103]
	v_add_f64 v[44:45], v[104:105], v[44:45]
	v_mul_f64 v[104:105], v[28:29], s[38:39]
	v_fma_f64 v[102:103], v[26:27], s[38:39], -v[102:103]
	v_add_f64 v[40:41], v[106:107], v[40:41]
	v_fma_f64 v[106:107], s[40:41], v[30:31], v[104:105]
	v_add_f64 v[42:43], v[102:103], v[42:43]
	v_fmac_f64_e32 v[104:105], s[36:37], v[30:31]
	v_mul_f64 v[102:103], v[32:33], s[52:53]
	v_add_f64 v[46:47], v[104:105], v[46:47]
	v_fma_f64 v[104:105], s[50:51], v[26:27], v[102:103]
	v_add_f64 v[52:53], v[104:105], v[52:53]
	v_mul_f64 v[104:105], v[28:29], s[50:51]
	v_fma_f64 v[102:103], v[26:27], s[50:51], -v[102:103]
	v_add_f64 v[48:49], v[106:107], v[48:49]
	;; [unrolled: 10-line block ×4, first 2 shown]
	v_fma_f64 v[106:107], s[16:17], v[30:31], v[104:105]
	v_add_f64 v[66:67], v[102:103], v[66:67]
	v_fmac_f64_e32 v[104:105], s[20:21], v[30:31]
	v_mul_f64 v[102:103], v[32:33], s[24:25]
	v_add_f64 v[72:73], v[104:105], v[72:73]
	v_fma_f64 v[104:105], s[26:27], v[26:27], v[102:103]
	v_fma_f64 v[102:103], v[26:27], s[26:27], -v[102:103]
	v_mul_f64 v[108:109], v[28:29], s[26:27]
	v_add_f64 v[102:103], v[102:103], v[110:111]
	v_mul_f64 v[110:111], v[32:33], s[0:1]
	v_add_f64 v[106:107], v[106:107], v[112:113]
	v_add_f64 v[104:105], v[104:105], v[114:115]
	v_fma_f64 v[112:113], s[30:31], v[30:31], v[108:109]
	v_fmac_f64_e32 v[108:109], s[24:25], v[30:31]
	v_fma_f64 v[114:115], s[2:3], v[26:27], v[110:111]
	v_fma_f64 v[110:111], v[26:27], s[2:3], -v[110:111]
	v_mul_f64 v[32:33], v[32:33], s[42:43]
	v_add_f64 v[108:109], v[108:109], v[116:117]
	v_mul_f64 v[116:117], v[28:29], s[2:3]
	v_add_f64 v[110:111], v[110:111], v[120:121]
	v_fma_f64 v[120:121], s[44:45], v[26:27], v[32:33]
	v_mul_f64 v[28:29], v[28:29], s[44:45]
	v_fma_f64 v[26:27], v[26:27], s[44:45], -v[32:33]
	v_add_f64 v[32:33], v[96:97], -v[100:101]
	v_add_f64 v[112:113], v[112:113], v[118:119]
	v_add_f64 v[114:115], v[114:115], v[122:123]
	v_fma_f64 v[118:119], s[8:9], v[30:31], v[116:117]
	v_fmac_f64_e32 v[116:117], s[0:1], v[30:31]
	v_fma_f64 v[122:123], s[46:47], v[30:31], v[28:29]
	v_add_f64 v[24:25], v[26:27], v[24:25]
	v_fmac_f64_e32 v[28:29], s[42:43], v[30:31]
	v_add_f64 v[26:27], v[94:95], v[98:99]
	v_add_f64 v[30:31], v[94:95], -v[98:99]
	v_mul_f64 v[94:95], v[32:33], s[0:1]
	v_add_f64 v[22:23], v[28:29], v[22:23]
	v_add_f64 v[28:29], v[96:97], v[100:101]
	v_fma_f64 v[96:97], s[2:3], v[26:27], v[94:95]
	v_add_f64 v[36:37], v[96:97], v[36:37]
	v_mul_f64 v[96:97], v[28:29], s[2:3]
	v_fma_f64 v[94:95], v[26:27], s[2:3], -v[94:95]
	v_fma_f64 v[98:99], s[8:9], v[30:31], v[96:97]
	v_add_f64 v[34:35], v[94:95], v[34:35]
	v_fmac_f64_e32 v[96:97], s[0:1], v[30:31]
	v_mul_f64 v[94:95], v[32:33], s[48:49]
	v_add_f64 v[38:39], v[96:97], v[38:39]
	v_fma_f64 v[96:97], s[50:51], v[26:27], v[94:95]
	v_add_f64 v[44:45], v[96:97], v[44:45]
	v_mul_f64 v[96:97], v[28:29], s[50:51]
	v_fma_f64 v[94:95], v[26:27], s[50:51], -v[94:95]
	v_add_f64 v[40:41], v[98:99], v[40:41]
	v_fma_f64 v[98:99], s[52:53], v[30:31], v[96:97]
	v_add_f64 v[42:43], v[94:95], v[42:43]
	v_fmac_f64_e32 v[96:97], s[48:49], v[30:31]
	v_mul_f64 v[94:95], v[32:33], s[34:35]
	v_add_f64 v[46:47], v[96:97], v[46:47]
	v_fma_f64 v[96:97], s[28:29], v[26:27], v[94:95]
	v_add_f64 v[52:53], v[96:97], v[52:53]
	v_mul_f64 v[96:97], v[28:29], s[28:29]
	v_fma_f64 v[94:95], v[26:27], s[28:29], -v[94:95]
	v_add_f64 v[48:49], v[98:99], v[48:49]
	;; [unrolled: 10-line block ×4, first 2 shown]
	v_fma_f64 v[98:99], s[14:15], v[30:31], v[96:97]
	v_add_f64 v[66:67], v[94:95], v[66:67]
	v_fmac_f64_e32 v[96:97], s[10:11], v[30:31]
	v_mul_f64 v[94:95], v[32:33], s[42:43]
	v_add_f64 v[72:73], v[96:97], v[72:73]
	v_fma_f64 v[96:97], s[44:45], v[26:27], v[94:95]
	v_fma_f64 v[94:95], v[26:27], s[44:45], -v[94:95]
	v_mul_f64 v[100:101], v[28:29], s[44:45]
	v_add_f64 v[94:95], v[94:95], v[102:103]
	v_mul_f64 v[102:103], v[32:33], s[40:41]
	v_add_f64 v[98:99], v[98:99], v[106:107]
	v_add_f64 v[96:97], v[96:97], v[104:105]
	v_fma_f64 v[104:105], s[46:47], v[30:31], v[100:101]
	v_fmac_f64_e32 v[100:101], s[42:43], v[30:31]
	v_fma_f64 v[106:107], s[38:39], v[26:27], v[102:103]
	v_fma_f64 v[102:103], v[26:27], s[38:39], -v[102:103]
	v_mul_f64 v[32:33], v[32:33], s[20:21]
	v_add_f64 v[100:101], v[100:101], v[108:109]
	v_mul_f64 v[108:109], v[28:29], s[38:39]
	v_add_f64 v[102:103], v[102:103], v[110:111]
	v_fma_f64 v[110:111], s[18:19], v[26:27], v[32:33]
	v_mul_f64 v[28:29], v[28:29], s[18:19]
	v_fma_f64 v[26:27], v[26:27], s[18:19], -v[32:33]
	v_add_f64 v[32:33], v[88:89], -v[92:93]
	v_add_f64 v[104:105], v[104:105], v[112:113]
	v_add_f64 v[106:107], v[106:107], v[114:115]
	v_fma_f64 v[112:113], s[36:37], v[30:31], v[108:109]
	v_fmac_f64_e32 v[108:109], s[40:41], v[30:31]
	v_fma_f64 v[114:115], s[16:17], v[30:31], v[28:29]
	v_add_f64 v[24:25], v[26:27], v[24:25]
	v_fmac_f64_e32 v[28:29], s[20:21], v[30:31]
	v_add_f64 v[26:27], v[86:87], v[90:91]
	v_add_f64 v[30:31], v[86:87], -v[90:91]
	v_mul_f64 v[86:87], v[32:33], s[22:23]
	v_add_f64 v[22:23], v[28:29], v[22:23]
	v_add_f64 v[28:29], v[88:89], v[92:93]
	v_fma_f64 v[88:89], s[28:29], v[26:27], v[86:87]
	v_add_f64 v[36:37], v[88:89], v[36:37]
	v_mul_f64 v[88:89], v[28:29], s[28:29]
	v_fma_f64 v[86:87], v[26:27], s[28:29], -v[86:87]
	v_fma_f64 v[90:91], s[34:35], v[30:31], v[88:89]
	v_add_f64 v[34:35], v[86:87], v[34:35]
	v_fmac_f64_e32 v[88:89], s[22:23], v[30:31]
	v_mul_f64 v[86:87], v[32:33], s[46:47]
	v_add_f64 v[38:39], v[88:89], v[38:39]
	v_fma_f64 v[88:89], s[44:45], v[26:27], v[86:87]
	v_add_f64 v[44:45], v[88:89], v[44:45]
	v_mul_f64 v[88:89], v[28:29], s[44:45]
	v_fma_f64 v[86:87], v[26:27], s[44:45], -v[86:87]
	v_add_f64 v[40:41], v[90:91], v[40:41]
	v_fma_f64 v[90:91], s[42:43], v[30:31], v[88:89]
	v_add_f64 v[42:43], v[86:87], v[42:43]
	v_fmac_f64_e32 v[88:89], s[46:47], v[30:31]
	v_mul_f64 v[86:87], v[32:33], s[20:21]
	v_add_f64 v[46:47], v[88:89], v[46:47]
	v_fma_f64 v[88:89], s[18:19], v[26:27], v[86:87]
	v_add_f64 v[52:53], v[88:89], v[52:53]
	v_mul_f64 v[88:89], v[28:29], s[18:19]
	v_fma_f64 v[86:87], v[26:27], s[18:19], -v[86:87]
	v_add_f64 v[48:49], v[90:91], v[48:49]
	;; [unrolled: 10-line block ×4, first 2 shown]
	v_fma_f64 v[90:91], s[52:53], v[30:31], v[88:89]
	v_add_f64 v[66:67], v[86:87], v[66:67]
	v_fmac_f64_e32 v[88:89], s[48:49], v[30:31]
	v_mul_f64 v[86:87], v[32:33], s[8:9]
	v_add_f64 v[72:73], v[88:89], v[72:73]
	v_fma_f64 v[88:89], s[2:3], v[26:27], v[86:87]
	v_fma_f64 v[86:87], v[26:27], s[2:3], -v[86:87]
	v_mul_f64 v[92:93], v[28:29], s[2:3]
	v_add_f64 v[86:87], v[86:87], v[94:95]
	v_mul_f64 v[94:95], v[32:33], s[24:25]
	v_add_f64 v[90:91], v[90:91], v[98:99]
	v_add_f64 v[88:89], v[88:89], v[96:97]
	v_fma_f64 v[96:97], s[0:1], v[30:31], v[92:93]
	v_fmac_f64_e32 v[92:93], s[8:9], v[30:31]
	v_fma_f64 v[98:99], s[26:27], v[26:27], v[94:95]
	v_fma_f64 v[94:95], v[26:27], s[26:27], -v[94:95]
	v_mul_f64 v[32:33], v[32:33], s[36:37]
	v_add_f64 v[92:93], v[92:93], v[100:101]
	v_mul_f64 v[100:101], v[28:29], s[26:27]
	v_add_f64 v[94:95], v[94:95], v[102:103]
	v_fma_f64 v[102:103], s[38:39], v[26:27], v[32:33]
	v_mul_f64 v[28:29], v[28:29], s[38:39]
	v_fma_f64 v[26:27], v[26:27], s[38:39], -v[32:33]
	v_add_f64 v[32:33], v[80:81], -v[84:85]
	v_add_f64 v[96:97], v[96:97], v[104:105]
	v_add_f64 v[98:99], v[98:99], v[106:107]
	v_fma_f64 v[104:105], s[30:31], v[30:31], v[100:101]
	v_fmac_f64_e32 v[100:101], s[24:25], v[30:31]
	v_fma_f64 v[106:107], s[40:41], v[30:31], v[28:29]
	v_add_f64 v[24:25], v[26:27], v[24:25]
	v_fmac_f64_e32 v[28:29], s[36:37], v[30:31]
	v_add_f64 v[26:27], v[78:79], v[82:83]
	v_add_f64 v[30:31], v[78:79], -v[82:83]
	v_mul_f64 v[78:79], v[32:33], s[36:37]
	v_add_f64 v[22:23], v[28:29], v[22:23]
	v_add_f64 v[28:29], v[80:81], v[84:85]
	v_fma_f64 v[80:81], s[38:39], v[26:27], v[78:79]
	v_add_f64 v[36:37], v[80:81], v[36:37]
	v_mul_f64 v[80:81], v[28:29], s[38:39]
	v_fma_f64 v[78:79], v[26:27], s[38:39], -v[78:79]
	v_fma_f64 v[82:83], s[40:41], v[30:31], v[80:81]
	v_add_f64 v[34:35], v[78:79], v[34:35]
	v_fmac_f64_e32 v[80:81], s[36:37], v[30:31]
	v_mul_f64 v[78:79], v[32:33], s[34:35]
	v_add_f64 v[38:39], v[80:81], v[38:39]
	v_fma_f64 v[80:81], s[28:29], v[26:27], v[78:79]
	v_add_f64 v[44:45], v[80:81], v[44:45]
	v_mul_f64 v[80:81], v[28:29], s[28:29]
	v_fma_f64 v[78:79], v[26:27], s[28:29], -v[78:79]
	v_add_f64 v[40:41], v[82:83], v[40:41]
	v_fma_f64 v[82:83], s[22:23], v[30:31], v[80:81]
	v_add_f64 v[42:43], v[78:79], v[42:43]
	v_fmac_f64_e32 v[80:81], s[34:35], v[30:31]
	v_mul_f64 v[78:79], v[32:33], s[24:25]
	v_add_f64 v[46:47], v[80:81], v[46:47]
	v_fma_f64 v[80:81], s[26:27], v[26:27], v[78:79]
	v_add_f64 v[52:53], v[80:81], v[52:53]
	v_mul_f64 v[80:81], v[28:29], s[26:27]
	v_fma_f64 v[78:79], v[26:27], s[26:27], -v[78:79]
	v_add_f64 v[48:49], v[82:83], v[48:49]
	;; [unrolled: 10-line block ×4, first 2 shown]
	v_fma_f64 v[82:83], s[0:1], v[30:31], v[80:81]
	v_add_f64 v[66:67], v[78:79], v[66:67]
	v_fmac_f64_e32 v[80:81], s[8:9], v[30:31]
	v_mul_f64 v[78:79], v[32:33], s[16:17]
	v_add_f64 v[72:73], v[80:81], v[72:73]
	v_fma_f64 v[80:81], s[18:19], v[26:27], v[78:79]
	v_mul_f64 v[84:85], v[28:29], s[18:19]
	v_fma_f64 v[78:79], v[26:27], s[18:19], -v[78:79]
	v_add_f64 v[80:81], v[80:81], v[88:89]
	v_fma_f64 v[88:89], s[20:21], v[30:31], v[84:85]
	v_add_f64 v[78:79], v[78:79], v[86:87]
	v_fmac_f64_e32 v[84:85], s[16:17], v[30:31]
	v_mul_f64 v[86:87], v[32:33], s[48:49]
	v_add_f64 v[82:83], v[82:83], v[90:91]
	v_add_f64 v[84:85], v[84:85], v[92:93]
	v_fma_f64 v[90:91], s[50:51], v[26:27], v[86:87]
	v_mul_f64 v[92:93], v[28:29], s[50:51]
	v_mul_f64 v[28:29], v[28:29], s[12:13]
	v_add_f64 v[90:91], v[90:91], v[98:99]
	v_fma_f64 v[86:87], v[26:27], s[50:51], -v[86:87]
	v_mul_f64 v[32:33], v[32:33], s[14:15]
	v_fma_f64 v[98:99], s[10:11], v[30:31], v[28:29]
	v_fmac_f64_e32 v[28:29], s[14:15], v[30:31]
	v_add_f64 v[86:87], v[86:87], v[94:95]
	v_fma_f64 v[94:95], s[12:13], v[26:27], v[32:33]
	v_fma_f64 v[26:27], v[26:27], s[12:13], -v[32:33]
	v_add_f64 v[22:23], v[28:29], v[22:23]
	v_add_f64 v[28:29], v[16:17], v[76:77]
	v_add_f64 v[16:17], v[16:17], -v[76:77]
	v_add_f64 v[24:25], v[26:27], v[24:25]
	v_add_f64 v[26:27], v[14:15], v[18:19]
	v_add_f64 v[14:15], v[14:15], -v[18:19]
	v_mul_f64 v[18:19], v[16:17], s[42:43]
	v_add_f64 v[88:89], v[88:89], v[96:97]
	v_fma_f64 v[96:97], s[52:53], v[30:31], v[92:93]
	v_fmac_f64_e32 v[92:93], s[48:49], v[30:31]
	v_fma_f64 v[30:31], s[44:45], v[26:27], v[18:19]
	v_mul_f64 v[32:33], v[28:29], s[44:45]
	v_fma_f64 v[18:19], v[26:27], s[44:45], -v[18:19]
	v_add_f64 v[30:31], v[30:31], v[36:37]
	v_fma_f64 v[36:37], s[46:47], v[14:15], v[32:33]
	v_add_f64 v[18:19], v[18:19], v[34:35]
	v_fmac_f64_e32 v[32:33], s[42:43], v[14:15]
	v_mul_f64 v[34:35], v[16:17], s[14:15]
	v_add_f64 v[36:37], v[36:37], v[40:41]
	v_add_f64 v[32:33], v[32:33], v[38:39]
	v_fma_f64 v[38:39], s[12:13], v[26:27], v[34:35]
	v_mul_f64 v[40:41], v[28:29], s[12:13]
	v_fma_f64 v[34:35], v[26:27], s[12:13], -v[34:35]
	v_add_f64 v[38:39], v[38:39], v[44:45]
	v_fma_f64 v[44:45], s[10:11], v[14:15], v[40:41]
	v_add_f64 v[34:35], v[34:35], v[42:43]
	v_fmac_f64_e32 v[40:41], s[14:15], v[14:15]
	v_mul_f64 v[42:43], v[16:17], s[0:1]
	v_add_f64 v[44:45], v[44:45], v[48:49]
	v_add_f64 v[40:41], v[40:41], v[46:47]
	v_fma_f64 v[46:47], s[2:3], v[26:27], v[42:43]
	v_mul_f64 v[48:49], v[28:29], s[2:3]
	v_fma_f64 v[42:43], v[26:27], s[2:3], -v[42:43]
	v_add_f64 v[46:47], v[46:47], v[52:53]
	v_fma_f64 v[52:53], s[8:9], v[14:15], v[48:49]
	v_add_f64 v[42:43], v[42:43], v[50:51]
	v_fmac_f64_e32 v[48:49], s[0:1], v[14:15]
	v_mul_f64 v[50:51], v[16:17], s[40:41]
	v_add_f64 v[52:53], v[52:53], v[56:57]
	v_add_f64 v[48:49], v[48:49], v[54:55]
	v_fma_f64 v[54:55], s[38:39], v[26:27], v[50:51]
	v_mul_f64 v[56:57], v[28:29], s[38:39]
	v_fma_f64 v[50:51], v[26:27], s[38:39], -v[50:51]
	v_add_f64 v[54:55], v[54:55], v[60:61]
	v_fma_f64 v[60:61], s[36:37], v[14:15], v[56:57]
	v_add_f64 v[50:51], v[50:51], v[58:59]
	v_fmac_f64_e32 v[56:57], s[40:41], v[14:15]
	v_mul_f64 v[58:59], v[16:17], s[24:25]
	v_add_f64 v[60:61], v[60:61], v[64:65]
	v_add_f64 v[56:57], v[56:57], v[62:63]
	v_fma_f64 v[62:63], s[26:27], v[26:27], v[58:59]
	v_mul_f64 v[64:65], v[28:29], s[26:27]
	v_fma_f64 v[58:59], v[26:27], s[26:27], -v[58:59]
	v_add_f64 v[126:127], v[126:127], v[134:135]
	v_add_f64 v[128:129], v[128:129], v[136:137]
	v_add_f64 v[62:63], v[62:63], v[74:75]
	v_fma_f64 v[74:75], s[30:31], v[14:15], v[64:65]
	v_add_f64 v[58:59], v[58:59], v[66:67]
	v_fmac_f64_e32 v[64:65], s[24:25], v[14:15]
	v_mul_f64 v[66:67], v[16:17], s[48:49]
	v_add_f64 v[124:125], v[124:125], v[132:133]
	v_add_f64 v[118:119], v[118:119], v[126:127]
	;; [unrolled: 1-line block ×4, first 2 shown]
	v_fma_f64 v[72:73], s[50:51], v[26:27], v[66:67]
	v_mul_f64 v[76:77], v[28:29], s[50:51]
	v_add_f64 v[116:117], v[116:117], v[124:125]
	v_add_f64 v[112:113], v[112:113], v[118:119]
	;; [unrolled: 1-line block ×4, first 2 shown]
	v_fma_f64 v[80:81], s[52:53], v[14:15], v[76:77]
	v_fmac_f64_e32 v[76:77], s[48:49], v[14:15]
	v_add_f64 v[108:109], v[108:109], v[116:117]
	v_add_f64 v[104:105], v[104:105], v[112:113]
	;; [unrolled: 1-line block ×4, first 2 shown]
	v_mul_f64 v[84:85], v[28:29], s[18:19]
	v_add_f64 v[100:101], v[100:101], v[108:109]
	v_add_f64 v[96:97], v[96:97], v[104:105]
	v_add_f64 v[94:95], v[94:95], v[102:103]
	v_add_f64 v[80:81], v[80:81], v[88:89]
	v_fma_f64 v[88:89], s[16:17], v[14:15], v[84:85]
	v_add_f64 v[102:103], v[8:9], -v[12:13]
	v_add_f64 v[92:93], v[92:93], v[100:101]
	v_fma_f64 v[66:67], v[26:27], s[50:51], -v[66:67]
	v_add_f64 v[88:89], v[88:89], v[96:97]
	v_add_f64 v[96:97], v[6:7], v[10:11]
	v_add_f64 v[100:101], v[6:7], -v[10:11]
	v_mul_f64 v[10:11], v[102:103], s[48:49]
	v_add_f64 v[66:67], v[66:67], v[78:79]
	v_mul_f64 v[78:79], v[16:17], s[20:21]
	v_fma_f64 v[6:7], s[50:51], v[96:97], v[10:11]
	v_fma_f64 v[10:11], v[96:97], s[50:51], -v[10:11]
	v_add_f64 v[74:75], v[74:75], v[82:83]
	v_fma_f64 v[82:83], s[18:19], v[26:27], v[78:79]
	v_fma_f64 v[78:79], v[26:27], s[18:19], -v[78:79]
	v_mul_f64 v[16:17], v[16:17], s[22:23]
	v_mul_f64 v[28:29], v[28:29], s[28:29]
	v_add_f64 v[10:11], v[10:11], v[18:19]
	v_mul_f64 v[18:19], v[102:103], s[30:31]
	v_add_f64 v[130:131], v[130:131], v[138:139]
	v_add_f64 v[82:83], v[82:83], v[90:91]
	;; [unrolled: 1-line block ×3, first 2 shown]
	v_fmac_f64_e32 v[84:85], s[20:21], v[14:15]
	v_fma_f64 v[86:87], s[28:29], v[26:27], v[16:17]
	v_fma_f64 v[90:91], s[34:35], v[14:15], v[28:29]
	v_fmac_f64_e32 v[28:29], s[22:23], v[14:15]
	v_fma_f64 v[14:15], s[26:27], v[96:97], v[18:19]
	v_fma_f64 v[18:19], v[96:97], s[26:27], -v[18:19]
	v_add_f64 v[122:123], v[122:123], v[130:131]
	v_add_f64 v[86:87], v[86:87], v[94:95]
	;; [unrolled: 1-line block ×4, first 2 shown]
	v_mul_f64 v[18:19], v[102:103], s[42:43]
	v_add_f64 v[114:115], v[114:115], v[122:123]
	v_fma_f64 v[16:17], v[26:27], s[28:29], -v[16:17]
	v_fma_f64 v[26:27], s[44:45], v[96:97], v[18:19]
	v_fma_f64 v[18:19], v[96:97], s[44:45], -v[18:19]
	v_add_f64 v[106:107], v[106:107], v[114:115]
	v_add_f64 v[6:7], v[6:7], v[30:31]
	v_add_f64 v[30:31], v[18:19], v[42:43]
	v_mul_f64 v[18:19], v[102:103], s[20:21]
	v_add_f64 v[98:99], v[98:99], v[106:107]
	v_fma_f64 v[34:35], s[18:19], v[96:97], v[18:19]
	v_fma_f64 v[18:19], v[96:97], s[18:19], -v[18:19]
	v_add_f64 v[90:91], v[90:91], v[98:99]
	v_add_f64 v[98:99], v[8:9], v[12:13]
	;; [unrolled: 1-line block ×4, first 2 shown]
	v_mul_f64 v[18:19], v[102:103], s[36:37]
	v_add_f64 v[84:85], v[84:85], v[92:93]
	v_add_f64 v[92:93], v[16:17], v[24:25]
	v_mul_f64 v[24:25], v[98:99], s[26:27]
	v_fma_f64 v[42:43], s[38:39], v[96:97], v[18:19]
	v_fma_f64 v[18:19], v[96:97], s[38:39], -v[18:19]
	v_mul_f64 v[12:13], v[98:99], s[50:51]
	v_fma_f64 v[16:17], s[24:25], v[100:101], v[24:25]
	v_fmac_f64_e32 v[24:25], s[30:31], v[100:101]
	v_add_f64 v[26:27], v[26:27], v[46:47]
	v_add_f64 v[46:47], v[18:19], v[58:59]
	v_mul_f64 v[18:19], v[102:103], s[14:15]
	v_fma_f64 v[8:9], s[52:53], v[100:101], v[12:13]
	v_fmac_f64_e32 v[12:13], s[48:49], v[100:101]
	v_add_f64 v[24:25], v[24:25], v[40:41]
	v_mul_f64 v[40:41], v[98:99], s[18:19]
	v_fma_f64 v[50:51], s[12:13], v[96:97], v[18:19]
	v_fma_f64 v[18:19], v[96:97], s[12:13], -v[18:19]
	v_add_f64 v[8:9], v[8:9], v[36:37]
	v_add_f64 v[12:13], v[12:13], v[32:33]
	v_mul_f64 v[32:33], v[98:99], s[44:45]
	v_add_f64 v[34:35], v[34:35], v[54:55]
	v_fma_f64 v[36:37], s[16:17], v[100:101], v[40:41]
	v_fmac_f64_e32 v[40:41], s[20:21], v[100:101]
	v_add_f64 v[54:55], v[18:19], v[66:67]
	v_mul_f64 v[18:19], v[102:103], s[22:23]
	v_fma_f64 v[28:29], s[46:47], v[100:101], v[32:33]
	v_add_f64 v[40:41], v[40:41], v[56:57]
	v_mul_f64 v[56:57], v[98:99], s[12:13]
	v_fma_f64 v[58:59], s[28:29], v[96:97], v[18:19]
	v_add_f64 v[28:29], v[28:29], v[52:53]
	v_add_f64 v[50:51], v[50:51], v[72:73]
	v_fma_f64 v[52:53], s[10:11], v[100:101], v[56:57]
	v_fmac_f64_e32 v[56:57], s[14:15], v[100:101]
	v_add_f64 v[72:73], v[58:59], v[82:83]
	v_mul_f64 v[58:59], v[98:99], s[28:29]
	v_fma_f64 v[18:19], v[96:97], s[28:29], -v[18:19]
	v_fmac_f64_e32 v[32:33], s[42:43], v[100:101]
	v_add_f64 v[36:37], v[36:37], v[60:61]
	v_add_f64 v[56:57], v[56:57], v[76:77]
	v_fma_f64 v[60:61], s[34:35], v[100:101], v[58:59]
	v_add_f64 v[76:77], v[18:19], v[78:79]
	v_fmac_f64_e32 v[58:59], s[22:23], v[100:101]
	v_mul_f64 v[18:19], v[102:103], s[8:9]
	v_add_f64 v[32:33], v[32:33], v[48:49]
	v_mul_f64 v[48:49], v[98:99], s[38:39]
	v_add_f64 v[78:79], v[58:59], v[84:85]
	v_fma_f64 v[58:59], s[2:3], v[96:97], v[18:19]
	v_add_f64 v[16:17], v[16:17], v[44:45]
	v_fma_f64 v[44:45], s[40:41], v[100:101], v[48:49]
	v_add_f64 v[52:53], v[52:53], v[80:81]
	v_add_f64 v[80:81], v[58:59], v[86:87]
	v_mul_f64 v[58:59], v[98:99], s[2:3]
	v_add_f64 v[44:45], v[44:45], v[74:75]
	v_fmac_f64_e32 v[48:49], s[36:37], v[100:101]
	v_add_f64 v[74:75], v[60:61], v[88:89]
	v_fma_f64 v[60:61], s[0:1], v[100:101], v[58:59]
	v_fma_f64 v[18:19], v[96:97], s[2:3], -v[18:19]
	v_fmac_f64_e32 v[58:59], s[8:9], v[100:101]
	v_add_f64 v[42:43], v[42:43], v[62:63]
	v_add_f64 v[48:49], v[48:49], v[64:65]
	;; [unrolled: 1-line block ×5, first 2 shown]
	ds_write_b128 v20, v[68:71]
	ds_write_b128 v20, v[6:9] offset:1360
	ds_write_b128 v20, v[14:17] offset:2720
	;; [unrolled: 1-line block ×16, first 2 shown]
	s_waitcnt lgkmcnt(0)
	s_barrier
	ds_read_b128 v[6:9], v20
	ds_read_b128 v[10:13], v20 offset:1360
	v_mov_b32_e32 v4, v3
	v_accvgpr_read_b32 v17, a7
	v_mad_u64_u32 v[4:5], s[0:1], s7, v140, v[4:5]
	v_accvgpr_read_b32 v16, a6
	v_mov_b32_e32 v3, v4
	v_accvgpr_read_b32 v15, a5
	v_accvgpr_read_b32 v14, a4
	s_waitcnt lgkmcnt(1)
	v_mul_f64 v[4:5], v[16:17], v[8:9]
	v_fmac_f64_e32 v[4:5], v[14:15], v[6:7]
	v_mul_f64 v[6:7], v[16:17], v[6:7]
	v_accvgpr_read_b32 v16, a0
	v_fma_f64 v[6:7], v[14:15], v[8:9], -v[6:7]
	v_mad_u64_u32 v[8:9], s[2:3], s4, v16, 0
	v_mov_b32_e32 v14, v9
	s_mov_b32 s0, 0xda71079e
	v_mad_u64_u32 v[14:15], s[2:3], s5, v16, v[14:15]
	s_mov_b32 s1, 0x3f46ad43
	v_mov_b32_e32 v9, v14
	v_lshl_add_u64 v[0:1], v[2:3], 4, v[0:1]
	v_mul_f64 v[4:5], v[4:5], s[0:1]
	v_mul_f64 v[6:7], v[6:7], s[0:1]
	v_lshl_add_u64 v[8:9], v[8:9], 4, v[0:1]
	global_store_dwordx4 v[8:9], v[4:7], off
	v_mov_b32_e32 v14, 0x550
	v_accvgpr_read_b32 v16, a64
	v_accvgpr_read_b32 v4, a68
	;; [unrolled: 1-line block ×5, first 2 shown]
	s_waitcnt lgkmcnt(0)
	v_mul_f64 v[0:1], v[6:7], v[12:13]
	v_mul_f64 v[2:3], v[6:7], v[10:11]
	v_fmac_f64_e32 v[0:1], v[4:5], v[10:11]
	v_fma_f64 v[2:3], v[4:5], v[12:13], -v[2:3]
	ds_read_b128 v[4:7], v20 offset:2720
	v_mad_u64_u32 v[12:13], s[2:3], s4, v14, v[8:9]
	s_mul_i32 s2, s5, 0x550
	v_mul_f64 v[0:1], v[0:1], s[0:1]
	v_mul_f64 v[2:3], v[2:3], s[0:1]
	v_add_u32_e32 v13, s2, v13
	v_accvgpr_read_b32 v18, a66
	v_accvgpr_read_b32 v19, a67
	global_store_dwordx4 v[12:13], v[0:3], off
	ds_read_b128 v[0:3], v20 offset:4080
	v_accvgpr_read_b32 v17, a65
	s_waitcnt lgkmcnt(1)
	v_mul_f64 v[8:9], v[18:19], v[6:7]
	v_fmac_f64_e32 v[8:9], v[16:17], v[4:5]
	v_mul_f64 v[4:5], v[18:19], v[4:5]
	v_fma_f64 v[4:5], v[16:17], v[6:7], -v[4:5]
	v_mad_u64_u32 v[12:13], s[6:7], s4, v14, v[12:13]
	v_mul_f64 v[8:9], v[8:9], s[0:1]
	v_mul_f64 v[10:11], v[4:5], s[0:1]
	v_add_u32_e32 v13, s2, v13
	global_store_dwordx4 v[12:13], v[8:11], off
	v_accvgpr_read_b32 v6, a60
	v_accvgpr_read_b32 v7, a61
	v_accvgpr_read_b32 v8, a62
	v_accvgpr_read_b32 v9, a63
	s_waitcnt lgkmcnt(0)
	v_mul_f64 v[4:5], v[8:9], v[2:3]
	v_fmac_f64_e32 v[4:5], v[6:7], v[0:1]
	v_mul_f64 v[0:1], v[8:9], v[0:1]
	v_fma_f64 v[0:1], v[6:7], v[2:3], -v[0:1]
	v_mul_f64 v[6:7], v[0:1], s[0:1]
	ds_read_b128 v[0:3], v20 offset:5440
	v_mad_u64_u32 v[12:13], s[6:7], s4, v14, v[12:13]
	v_accvgpr_read_b32 v16, a56
	v_mul_f64 v[4:5], v[4:5], s[0:1]
	v_add_u32_e32 v13, s2, v13
	v_accvgpr_read_b32 v18, a58
	v_accvgpr_read_b32 v19, a59
	global_store_dwordx4 v[12:13], v[4:7], off
	ds_read_b128 v[4:7], v20 offset:6800
	v_accvgpr_read_b32 v17, a57
	s_waitcnt lgkmcnt(1)
	v_mul_f64 v[8:9], v[18:19], v[2:3]
	v_fmac_f64_e32 v[8:9], v[16:17], v[0:1]
	v_mul_f64 v[0:1], v[18:19], v[0:1]
	v_fma_f64 v[0:1], v[16:17], v[2:3], -v[0:1]
	v_mad_u64_u32 v[12:13], s[6:7], s4, v14, v[12:13]
	v_mul_f64 v[8:9], v[8:9], s[0:1]
	v_mul_f64 v[10:11], v[0:1], s[0:1]
	v_add_u32_e32 v13, s2, v13
	global_store_dwordx4 v[12:13], v[8:11], off
	v_mad_u64_u32 v[12:13], s[6:7], s4, v14, v[12:13]
	s_nop 0
	v_accvgpr_read_b32 v8, a52
	v_accvgpr_read_b32 v10, a54
	v_accvgpr_read_b32 v11, a55
	v_accvgpr_read_b32 v9, a53
	s_waitcnt lgkmcnt(0)
	v_mul_f64 v[0:1], v[10:11], v[6:7]
	v_mul_f64 v[2:3], v[10:11], v[4:5]
	v_fmac_f64_e32 v[0:1], v[8:9], v[4:5]
	v_fma_f64 v[2:3], v[8:9], v[6:7], -v[2:3]
	ds_read_b128 v[4:7], v20 offset:8160
	v_accvgpr_read_b32 v16, a48
	v_mul_f64 v[0:1], v[0:1], s[0:1]
	v_mul_f64 v[2:3], v[2:3], s[0:1]
	v_add_u32_e32 v13, s2, v13
	v_accvgpr_read_b32 v18, a50
	v_accvgpr_read_b32 v19, a51
	global_store_dwordx4 v[12:13], v[0:3], off
	ds_read_b128 v[0:3], v20 offset:9520
	v_accvgpr_read_b32 v17, a49
	s_waitcnt lgkmcnt(1)
	v_mul_f64 v[8:9], v[18:19], v[6:7]
	v_fmac_f64_e32 v[8:9], v[16:17], v[4:5]
	v_mul_f64 v[4:5], v[18:19], v[4:5]
	v_fma_f64 v[4:5], v[16:17], v[6:7], -v[4:5]
	v_mad_u64_u32 v[12:13], s[6:7], s4, v14, v[12:13]
	v_mul_f64 v[8:9], v[8:9], s[0:1]
	v_mul_f64 v[10:11], v[4:5], s[0:1]
	v_add_u32_e32 v13, s2, v13
	global_store_dwordx4 v[12:13], v[8:11], off
	v_accvgpr_read_b32 v6, a44
	v_accvgpr_read_b32 v7, a45
	v_accvgpr_read_b32 v8, a46
	v_accvgpr_read_b32 v9, a47
	s_waitcnt lgkmcnt(0)
	v_mul_f64 v[4:5], v[8:9], v[2:3]
	v_fmac_f64_e32 v[4:5], v[6:7], v[0:1]
	v_mul_f64 v[0:1], v[8:9], v[0:1]
	v_fma_f64 v[0:1], v[6:7], v[2:3], -v[0:1]
	v_mul_f64 v[6:7], v[0:1], s[0:1]
	ds_read_b128 v[0:3], v20 offset:10880
	v_mad_u64_u32 v[12:13], s[6:7], s4, v14, v[12:13]
	v_accvgpr_read_b32 v16, a24
	v_mul_f64 v[4:5], v[4:5], s[0:1]
	v_add_u32_e32 v13, s2, v13
	v_accvgpr_read_b32 v18, a26
	v_accvgpr_read_b32 v19, a27
	global_store_dwordx4 v[12:13], v[4:7], off
	ds_read_b128 v[4:7], v20 offset:12240
	v_accvgpr_read_b32 v17, a25
	s_waitcnt lgkmcnt(1)
	v_mul_f64 v[8:9], v[18:19], v[2:3]
	v_fmac_f64_e32 v[8:9], v[16:17], v[0:1]
	v_mul_f64 v[0:1], v[18:19], v[0:1]
	v_fma_f64 v[0:1], v[16:17], v[2:3], -v[0:1]
	v_mad_u64_u32 v[12:13], s[6:7], s4, v14, v[12:13]
	v_mul_f64 v[8:9], v[8:9], s[0:1]
	v_mul_f64 v[10:11], v[0:1], s[0:1]
	v_add_u32_e32 v13, s2, v13
	global_store_dwordx4 v[12:13], v[8:11], off
	v_mad_u64_u32 v[12:13], s[6:7], s4, v14, v[12:13]
	s_nop 0
	v_accvgpr_read_b32 v8, a8
	v_accvgpr_read_b32 v10, a10
	v_accvgpr_read_b32 v11, a11
	v_accvgpr_read_b32 v9, a9
	s_waitcnt lgkmcnt(0)
	v_mul_f64 v[0:1], v[10:11], v[6:7]
	v_mul_f64 v[2:3], v[10:11], v[4:5]
	v_fmac_f64_e32 v[0:1], v[8:9], v[4:5]
	v_fma_f64 v[2:3], v[8:9], v[6:7], -v[2:3]
	ds_read_b128 v[4:7], v20 offset:13600
	v_accvgpr_read_b32 v16, a32
	;; [unrolled: 61-line block ×3, first 2 shown]
	v_mul_f64 v[0:1], v[0:1], s[0:1]
	v_mul_f64 v[2:3], v[2:3], s[0:1]
	v_add_u32_e32 v13, s2, v13
	v_accvgpr_read_b32 v18, a42
	v_accvgpr_read_b32 v19, a43
	global_store_dwordx4 v[12:13], v[0:3], off
	ds_read_b128 v[0:3], v20 offset:20400
	v_accvgpr_read_b32 v17, a41
	s_waitcnt lgkmcnt(1)
	v_mul_f64 v[8:9], v[18:19], v[6:7]
	v_fmac_f64_e32 v[8:9], v[16:17], v[4:5]
	v_mul_f64 v[4:5], v[18:19], v[4:5]
	v_fma_f64 v[4:5], v[16:17], v[6:7], -v[4:5]
	v_mad_u64_u32 v[12:13], s[6:7], s4, v14, v[12:13]
	v_mul_f64 v[8:9], v[8:9], s[0:1]
	v_mul_f64 v[10:11], v[4:5], s[0:1]
	v_add_u32_e32 v13, s2, v13
	global_store_dwordx4 v[12:13], v[8:11], off
	v_accvgpr_read_b32 v6, a20
	v_accvgpr_read_b32 v7, a21
	;; [unrolled: 1-line block ×4, first 2 shown]
	s_waitcnt lgkmcnt(0)
	v_mul_f64 v[4:5], v[8:9], v[2:3]
	v_fmac_f64_e32 v[4:5], v[6:7], v[0:1]
	v_mul_f64 v[0:1], v[8:9], v[0:1]
	v_fma_f64 v[0:1], v[6:7], v[2:3], -v[0:1]
	v_mul_f64 v[6:7], v[0:1], s[0:1]
	ds_read_b128 v[0:3], v20 offset:21760
	v_mad_u64_u32 v[8:9], s[6:7], s4, v14, v[12:13]
	v_accvgpr_read_b32 v10, a28
	v_mul_f64 v[4:5], v[4:5], s[0:1]
	v_add_u32_e32 v9, s2, v9
	v_accvgpr_read_b32 v12, a30
	v_accvgpr_read_b32 v13, a31
	global_store_dwordx4 v[8:9], v[4:7], off
	v_accvgpr_read_b32 v11, a29
	s_waitcnt lgkmcnt(0)
	v_mul_f64 v[4:5], v[12:13], v[2:3]
	v_fmac_f64_e32 v[4:5], v[10:11], v[0:1]
	v_mul_f64 v[0:1], v[12:13], v[0:1]
	v_fma_f64 v[0:1], v[10:11], v[2:3], -v[0:1]
	v_mul_f64 v[4:5], v[4:5], s[0:1]
	v_mul_f64 v[6:7], v[0:1], s[0:1]
	v_mad_u64_u32 v[0:1], s[0:1], s4, v14, v[8:9]
	v_add_u32_e32 v1, s2, v1
	global_store_dwordx4 v[0:1], v[4:7], off
.LBB0_10:
	s_endpgm
	.section	.rodata,"a",@progbits
	.p2align	6, 0x0
	.amdhsa_kernel bluestein_single_back_len1445_dim1_dp_op_CI_CI
		.amdhsa_group_segment_fixed_size 23120
		.amdhsa_private_segment_fixed_size 0
		.amdhsa_kernarg_size 104
		.amdhsa_user_sgpr_count 2
		.amdhsa_user_sgpr_dispatch_ptr 0
		.amdhsa_user_sgpr_queue_ptr 0
		.amdhsa_user_sgpr_kernarg_segment_ptr 1
		.amdhsa_user_sgpr_dispatch_id 0
		.amdhsa_user_sgpr_kernarg_preload_length 0
		.amdhsa_user_sgpr_kernarg_preload_offset 0
		.amdhsa_user_sgpr_private_segment_size 0
		.amdhsa_uses_dynamic_stack 0
		.amdhsa_enable_private_segment 0
		.amdhsa_system_sgpr_workgroup_id_x 1
		.amdhsa_system_sgpr_workgroup_id_y 0
		.amdhsa_system_sgpr_workgroup_id_z 0
		.amdhsa_system_sgpr_workgroup_info 0
		.amdhsa_system_vgpr_workitem_id 0
		.amdhsa_next_free_vgpr 354
		.amdhsa_next_free_sgpr 58
		.amdhsa_accum_offset 256
		.amdhsa_reserve_vcc 1
		.amdhsa_float_round_mode_32 0
		.amdhsa_float_round_mode_16_64 0
		.amdhsa_float_denorm_mode_32 3
		.amdhsa_float_denorm_mode_16_64 3
		.amdhsa_dx10_clamp 1
		.amdhsa_ieee_mode 1
		.amdhsa_fp16_overflow 0
		.amdhsa_tg_split 0
		.amdhsa_exception_fp_ieee_invalid_op 0
		.amdhsa_exception_fp_denorm_src 0
		.amdhsa_exception_fp_ieee_div_zero 0
		.amdhsa_exception_fp_ieee_overflow 0
		.amdhsa_exception_fp_ieee_underflow 0
		.amdhsa_exception_fp_ieee_inexact 0
		.amdhsa_exception_int_div_zero 0
	.end_amdhsa_kernel
	.text
.Lfunc_end0:
	.size	bluestein_single_back_len1445_dim1_dp_op_CI_CI, .Lfunc_end0-bluestein_single_back_len1445_dim1_dp_op_CI_CI
                                        ; -- End function
	.section	.AMDGPU.csdata,"",@progbits
; Kernel info:
; codeLenInByte = 35616
; NumSgprs: 64
; NumVgprs: 256
; NumAgprs: 98
; TotalNumVgprs: 354
; ScratchSize: 0
; MemoryBound: 0
; FloatMode: 240
; IeeeMode: 1
; LDSByteSize: 23120 bytes/workgroup (compile time only)
; SGPRBlocks: 7
; VGPRBlocks: 44
; NumSGPRsForWavesPerEU: 64
; NumVGPRsForWavesPerEU: 354
; AccumOffset: 256
; Occupancy: 1
; WaveLimiterHint : 1
; COMPUTE_PGM_RSRC2:SCRATCH_EN: 0
; COMPUTE_PGM_RSRC2:USER_SGPR: 2
; COMPUTE_PGM_RSRC2:TRAP_HANDLER: 0
; COMPUTE_PGM_RSRC2:TGID_X_EN: 1
; COMPUTE_PGM_RSRC2:TGID_Y_EN: 0
; COMPUTE_PGM_RSRC2:TGID_Z_EN: 0
; COMPUTE_PGM_RSRC2:TIDIG_COMP_CNT: 0
; COMPUTE_PGM_RSRC3_GFX90A:ACCUM_OFFSET: 63
; COMPUTE_PGM_RSRC3_GFX90A:TG_SPLIT: 0
	.text
	.p2alignl 6, 3212836864
	.fill 256, 4, 3212836864
	.type	__hip_cuid_ad36b51fca65851e,@object ; @__hip_cuid_ad36b51fca65851e
	.section	.bss,"aw",@nobits
	.globl	__hip_cuid_ad36b51fca65851e
__hip_cuid_ad36b51fca65851e:
	.byte	0                               ; 0x0
	.size	__hip_cuid_ad36b51fca65851e, 1

	.ident	"AMD clang version 19.0.0git (https://github.com/RadeonOpenCompute/llvm-project roc-6.4.0 25133 c7fe45cf4b819c5991fe208aaa96edf142730f1d)"
	.section	".note.GNU-stack","",@progbits
	.addrsig
	.addrsig_sym __hip_cuid_ad36b51fca65851e
	.amdgpu_metadata
---
amdhsa.kernels:
  - .agpr_count:     98
    .args:
      - .actual_access:  read_only
        .address_space:  global
        .offset:         0
        .size:           8
        .value_kind:     global_buffer
      - .actual_access:  read_only
        .address_space:  global
        .offset:         8
        .size:           8
        .value_kind:     global_buffer
      - .actual_access:  read_only
        .address_space:  global
        .offset:         16
        .size:           8
        .value_kind:     global_buffer
      - .actual_access:  read_only
        .address_space:  global
        .offset:         24
        .size:           8
        .value_kind:     global_buffer
      - .actual_access:  read_only
        .address_space:  global
        .offset:         32
        .size:           8
        .value_kind:     global_buffer
      - .offset:         40
        .size:           8
        .value_kind:     by_value
      - .address_space:  global
        .offset:         48
        .size:           8
        .value_kind:     global_buffer
      - .address_space:  global
        .offset:         56
        .size:           8
        .value_kind:     global_buffer
      - .address_space:  global
        .offset:         64
        .size:           8
        .value_kind:     global_buffer
      - .address_space:  global
        .offset:         72
        .size:           8
        .value_kind:     global_buffer
      - .offset:         80
        .size:           4
        .value_kind:     by_value
      - .address_space:  global
        .offset:         88
        .size:           8
        .value_kind:     global_buffer
      - .address_space:  global
        .offset:         96
        .size:           8
        .value_kind:     global_buffer
    .group_segment_fixed_size: 23120
    .kernarg_segment_align: 8
    .kernarg_segment_size: 104
    .language:       OpenCL C
    .language_version:
      - 2
      - 0
    .max_flat_workgroup_size: 85
    .name:           bluestein_single_back_len1445_dim1_dp_op_CI_CI
    .private_segment_fixed_size: 0
    .sgpr_count:     64
    .sgpr_spill_count: 0
    .symbol:         bluestein_single_back_len1445_dim1_dp_op_CI_CI.kd
    .uniform_work_group_size: 1
    .uses_dynamic_stack: false
    .vgpr_count:     354
    .vgpr_spill_count: 0
    .wavefront_size: 64
amdhsa.target:   amdgcn-amd-amdhsa--gfx950
amdhsa.version:
  - 1
  - 2
...

	.end_amdgpu_metadata
